;; amdgpu-corpus repo=ROCm/rocFFT kind=compiled arch=gfx950 opt=O3
	.text
	.amdgcn_target "amdgcn-amd-amdhsa--gfx950"
	.amdhsa_code_object_version 6
	.protected	fft_rtc_back_len1768_factors_17_13_8_wgs_136_tpt_136_halfLds_dp_ip_CI_unitstride_sbrr_R2C_dirReg ; -- Begin function fft_rtc_back_len1768_factors_17_13_8_wgs_136_tpt_136_halfLds_dp_ip_CI_unitstride_sbrr_R2C_dirReg
	.globl	fft_rtc_back_len1768_factors_17_13_8_wgs_136_tpt_136_halfLds_dp_ip_CI_unitstride_sbrr_R2C_dirReg
	.p2align	8
	.type	fft_rtc_back_len1768_factors_17_13_8_wgs_136_tpt_136_halfLds_dp_ip_CI_unitstride_sbrr_R2C_dirReg,@function
fft_rtc_back_len1768_factors_17_13_8_wgs_136_tpt_136_halfLds_dp_ip_CI_unitstride_sbrr_R2C_dirReg: ; @fft_rtc_back_len1768_factors_17_13_8_wgs_136_tpt_136_halfLds_dp_ip_CI_unitstride_sbrr_R2C_dirReg
; %bb.0:
	s_load_dwordx2 s[8:9], s[0:1], 0x50
	s_load_dwordx4 s[4:7], s[0:1], 0x0
	s_load_dwordx2 s[10:11], s[0:1], 0x18
	v_mul_u32_u24_e32 v1, 0x1e2, v0
	v_add_u32_sdwa v6, s2, v1 dst_sel:DWORD dst_unused:UNUSED_PAD src0_sel:DWORD src1_sel:WORD_1
	v_mov_b32_e32 v4, 0
	s_waitcnt lgkmcnt(0)
	v_cmp_lt_u64_e64 s[2:3], s[6:7], 2
	v_mov_b32_e32 v7, v4
	s_and_b64 vcc, exec, s[2:3]
	v_mov_b64_e32 v[2:3], 0
	s_cbranch_vccnz .LBB0_8
; %bb.1:
	s_load_dwordx2 s[2:3], s[0:1], 0x10
	s_add_u32 s12, s10, 8
	s_addc_u32 s13, s11, 0
	s_mov_b64 s[14:15], 1
	v_mov_b64_e32 v[2:3], 0
	s_waitcnt lgkmcnt(0)
	s_add_u32 s16, s2, 8
	s_addc_u32 s17, s3, 0
.LBB0_2:                                ; =>This Inner Loop Header: Depth=1
	s_load_dwordx2 s[18:19], s[16:17], 0x0
                                        ; implicit-def: $vgpr8_vgpr9
	s_waitcnt lgkmcnt(0)
	v_or_b32_e32 v5, s19, v7
	v_cmp_ne_u64_e32 vcc, 0, v[4:5]
	s_and_saveexec_b64 s[2:3], vcc
	s_xor_b64 s[20:21], exec, s[2:3]
	s_cbranch_execz .LBB0_4
; %bb.3:                                ;   in Loop: Header=BB0_2 Depth=1
	v_cvt_f32_u32_e32 v1, s18
	v_cvt_f32_u32_e32 v5, s19
	s_sub_u32 s2, 0, s18
	s_subb_u32 s3, 0, s19
	v_fmac_f32_e32 v1, 0x4f800000, v5
	v_rcp_f32_e32 v1, v1
	s_nop 0
	v_mul_f32_e32 v1, 0x5f7ffffc, v1
	v_mul_f32_e32 v5, 0x2f800000, v1
	v_trunc_f32_e32 v5, v5
	v_fmac_f32_e32 v1, 0xcf800000, v5
	v_cvt_u32_f32_e32 v5, v5
	v_cvt_u32_f32_e32 v1, v1
	v_mul_lo_u32 v8, s2, v5
	v_mul_hi_u32 v10, s2, v1
	v_mul_lo_u32 v9, s3, v1
	v_add_u32_e32 v10, v10, v8
	v_mul_lo_u32 v12, s2, v1
	v_add_u32_e32 v13, v10, v9
	v_mul_hi_u32 v8, v1, v12
	v_mul_hi_u32 v11, v1, v13
	v_mul_lo_u32 v10, v1, v13
	v_mov_b32_e32 v9, v4
	v_lshl_add_u64 v[8:9], v[8:9], 0, v[10:11]
	v_mul_hi_u32 v11, v5, v12
	v_mul_lo_u32 v12, v5, v12
	v_add_co_u32_e32 v8, vcc, v8, v12
	v_mul_hi_u32 v10, v5, v13
	s_nop 0
	v_addc_co_u32_e32 v8, vcc, v9, v11, vcc
	v_mov_b32_e32 v9, v4
	s_nop 0
	v_addc_co_u32_e32 v11, vcc, 0, v10, vcc
	v_mul_lo_u32 v10, v5, v13
	v_lshl_add_u64 v[8:9], v[8:9], 0, v[10:11]
	v_add_co_u32_e32 v1, vcc, v1, v8
	v_mul_lo_u32 v10, s2, v1
	s_nop 0
	v_addc_co_u32_e32 v5, vcc, v5, v9, vcc
	v_mul_lo_u32 v8, s2, v5
	v_mul_hi_u32 v9, s2, v1
	v_add_u32_e32 v8, v9, v8
	v_mul_lo_u32 v9, s3, v1
	v_add_u32_e32 v12, v8, v9
	v_mul_hi_u32 v14, v5, v10
	v_mul_lo_u32 v15, v5, v10
	v_mul_hi_u32 v9, v1, v12
	v_mul_lo_u32 v8, v1, v12
	v_mul_hi_u32 v10, v1, v10
	v_mov_b32_e32 v11, v4
	v_lshl_add_u64 v[8:9], v[10:11], 0, v[8:9]
	v_add_co_u32_e32 v8, vcc, v8, v15
	v_mul_hi_u32 v13, v5, v12
	s_nop 0
	v_addc_co_u32_e32 v8, vcc, v9, v14, vcc
	v_mul_lo_u32 v10, v5, v12
	s_nop 0
	v_addc_co_u32_e32 v11, vcc, 0, v13, vcc
	v_mov_b32_e32 v9, v4
	v_lshl_add_u64 v[8:9], v[8:9], 0, v[10:11]
	v_add_co_u32_e32 v1, vcc, v1, v8
	v_mul_hi_u32 v10, v6, v1
	s_nop 0
	v_addc_co_u32_e32 v5, vcc, v5, v9, vcc
	v_mad_u64_u32 v[8:9], s[2:3], v6, v5, 0
	v_mov_b32_e32 v11, v4
	v_lshl_add_u64 v[8:9], v[10:11], 0, v[8:9]
	v_mad_u64_u32 v[12:13], s[2:3], v7, v1, 0
	v_add_co_u32_e32 v1, vcc, v8, v12
	v_mad_u64_u32 v[10:11], s[2:3], v7, v5, 0
	s_nop 0
	v_addc_co_u32_e32 v8, vcc, v9, v13, vcc
	v_mov_b32_e32 v9, v4
	s_nop 0
	v_addc_co_u32_e32 v11, vcc, 0, v11, vcc
	v_lshl_add_u64 v[8:9], v[8:9], 0, v[10:11]
	v_mul_lo_u32 v1, s19, v8
	v_mul_lo_u32 v5, s18, v9
	v_mad_u64_u32 v[10:11], s[2:3], s18, v8, 0
	v_add3_u32 v1, v11, v5, v1
	v_sub_u32_e32 v5, v7, v1
	v_mov_b32_e32 v11, s19
	v_sub_co_u32_e32 v14, vcc, v6, v10
	v_lshl_add_u64 v[12:13], v[8:9], 0, 1
	s_nop 0
	v_subb_co_u32_e64 v5, s[2:3], v5, v11, vcc
	v_subrev_co_u32_e64 v10, s[2:3], s18, v14
	v_subb_co_u32_e32 v1, vcc, v7, v1, vcc
	s_nop 0
	v_subbrev_co_u32_e64 v5, s[2:3], 0, v5, s[2:3]
	v_cmp_le_u32_e64 s[2:3], s19, v5
	v_cmp_le_u32_e32 vcc, s19, v1
	s_nop 0
	v_cndmask_b32_e64 v11, 0, -1, s[2:3]
	v_cmp_le_u32_e64 s[2:3], s18, v10
	s_nop 1
	v_cndmask_b32_e64 v10, 0, -1, s[2:3]
	v_cmp_eq_u32_e64 s[2:3], s19, v5
	s_nop 1
	v_cndmask_b32_e64 v5, v11, v10, s[2:3]
	v_lshl_add_u64 v[10:11], v[8:9], 0, 2
	v_cmp_ne_u32_e64 s[2:3], 0, v5
	s_nop 1
	v_cndmask_b32_e64 v5, v13, v11, s[2:3]
	v_cndmask_b32_e64 v11, 0, -1, vcc
	v_cmp_le_u32_e32 vcc, s18, v14
	s_nop 1
	v_cndmask_b32_e64 v13, 0, -1, vcc
	v_cmp_eq_u32_e32 vcc, s19, v1
	s_nop 1
	v_cndmask_b32_e32 v1, v11, v13, vcc
	v_cmp_ne_u32_e32 vcc, 0, v1
	v_cndmask_b32_e64 v1, v12, v10, s[2:3]
	s_nop 0
	v_cndmask_b32_e32 v9, v9, v5, vcc
	v_cndmask_b32_e32 v8, v8, v1, vcc
.LBB0_4:                                ;   in Loop: Header=BB0_2 Depth=1
	s_andn2_saveexec_b64 s[2:3], s[20:21]
	s_cbranch_execz .LBB0_6
; %bb.5:                                ;   in Loop: Header=BB0_2 Depth=1
	v_cvt_f32_u32_e32 v1, s18
	s_sub_i32 s20, 0, s18
	v_rcp_iflag_f32_e32 v1, v1
	s_nop 0
	v_mul_f32_e32 v1, 0x4f7ffffe, v1
	v_cvt_u32_f32_e32 v1, v1
	v_mul_lo_u32 v5, s20, v1
	v_mul_hi_u32 v5, v1, v5
	v_add_u32_e32 v1, v1, v5
	v_mul_hi_u32 v1, v6, v1
	v_mul_lo_u32 v5, v1, s18
	v_sub_u32_e32 v5, v6, v5
	v_add_u32_e32 v8, 1, v1
	v_subrev_u32_e32 v9, s18, v5
	v_cmp_le_u32_e32 vcc, s18, v5
	s_nop 1
	v_cndmask_b32_e32 v5, v5, v9, vcc
	v_cndmask_b32_e32 v1, v1, v8, vcc
	v_add_u32_e32 v8, 1, v1
	v_cmp_le_u32_e32 vcc, s18, v5
	v_mov_b32_e32 v9, v4
	s_nop 0
	v_cndmask_b32_e32 v8, v1, v8, vcc
.LBB0_6:                                ;   in Loop: Header=BB0_2 Depth=1
	s_or_b64 exec, exec, s[2:3]
	v_mad_u64_u32 v[10:11], s[2:3], v8, s18, 0
	s_load_dwordx2 s[2:3], s[12:13], 0x0
	v_mul_lo_u32 v1, v9, s18
	v_mul_lo_u32 v5, v8, s19
	v_add3_u32 v1, v11, v5, v1
	v_sub_co_u32_e32 v5, vcc, v6, v10
	s_add_u32 s14, s14, 1
	s_nop 0
	v_subb_co_u32_e32 v1, vcc, v7, v1, vcc
	s_addc_u32 s15, s15, 0
	s_waitcnt lgkmcnt(0)
	v_mul_lo_u32 v1, s2, v1
	v_mul_lo_u32 v6, s3, v5
	v_mad_u64_u32 v[2:3], s[2:3], s2, v5, v[2:3]
	s_add_u32 s12, s12, 8
	v_add3_u32 v3, v6, v3, v1
	s_addc_u32 s13, s13, 0
	v_mov_b64_e32 v[6:7], s[6:7]
	s_add_u32 s16, s16, 8
	v_cmp_ge_u64_e32 vcc, s[14:15], v[6:7]
	s_addc_u32 s17, s17, 0
	s_cbranch_vccnz .LBB0_9
; %bb.7:                                ;   in Loop: Header=BB0_2 Depth=1
	v_mov_b64_e32 v[6:7], v[8:9]
	s_branch .LBB0_2
.LBB0_8:
	v_mov_b64_e32 v[8:9], v[6:7]
.LBB0_9:
	s_lshl_b64 s[2:3], s[6:7], 3
	s_add_u32 s2, s10, s2
	s_addc_u32 s3, s11, s3
	s_load_dwordx2 s[6:7], s[2:3], 0x0
	s_load_dwordx2 s[10:11], s[0:1], 0x20
	s_mov_b32 s2, 0x1e1e1e2
	s_waitcnt lgkmcnt(0)
	v_mul_lo_u32 v1, s6, v9
	v_mul_lo_u32 v4, s7, v8
	v_mad_u64_u32 v[2:3], s[0:1], s6, v8, v[2:3]
	v_add3_u32 v3, v4, v3, v1
	v_mul_hi_u32 v1, v0, s2
	v_mul_u32_u24_e32 v1, 0x88, v1
	v_sub_u32_e32 v118, v0, v1
	v_cmp_gt_u64_e64 s[0:1], s[10:11], v[8:9]
	v_lshl_add_u64 v[180:181], v[2:3], 4, s[8:9]
	v_lshl_add_u32 v178, v118, 4, 0
	s_and_saveexec_b64 s[2:3], s[0:1]
	s_cbranch_execz .LBB0_11
; %bb.10:
	v_mov_b32_e32 v119, 0
	v_lshl_add_u64 v[48:49], v[118:119], 4, v[180:181]
	v_add_co_u32_e32 v16, vcc, 0x1000, v48
	global_load_dwordx4 v[0:3], v[48:49], off
	global_load_dwordx4 v[4:7], v[48:49], off offset:2176
	v_addc_co_u32_e32 v17, vcc, 0, v49, vcc
	v_add_co_u32_e32 v24, vcc, 0x2000, v48
	global_load_dwordx4 v[8:11], v[16:17], off offset:256
	global_load_dwordx4 v[12:15], v[16:17], off offset:2432
	v_addc_co_u32_e32 v25, vcc, 0, v49, vcc
	v_add_co_u32_e32 v32, vcc, 0x3000, v48
	global_load_dwordx4 v[16:19], v[24:25], off offset:512
	;; [unrolled: 4-line block ×4, first 2 shown]
	global_load_dwordx4 v[36:39], v[40:41], off offset:3200
	v_addc_co_u32_e32 v51, vcc, 0, v49, vcc
	global_load_dwordx4 v[40:43], v[50:51], off offset:1280
	global_load_dwordx4 v[44:47], v[50:51], off offset:3456
	v_add_co_u32_e32 v48, vcc, 0x6000, v48
	s_nop 1
	v_addc_co_u32_e32 v49, vcc, 0, v49, vcc
	global_load_dwordx4 v[48:51], v[48:49], off offset:1536
	s_waitcnt vmcnt(12)
	ds_write_b128 v178, v[0:3]
	s_waitcnt vmcnt(11)
	ds_write_b128 v178, v[4:7] offset:2176
	s_waitcnt vmcnt(10)
	ds_write_b128 v178, v[8:11] offset:4352
	;; [unrolled: 2-line block ×12, first 2 shown]
.LBB0_11:
	s_or_b64 exec, exec, s[2:3]
	s_waitcnt lgkmcnt(0)
	s_barrier
	ds_read_b128 v[12:15], v178 offset:26624
	ds_read_b128 v[16:19], v178 offset:1664
	ds_read_b128 v[20:23], v178
	ds_read_b128 v[24:27], v178 offset:3328
	ds_read_b128 v[28:31], v178 offset:4992
	;; [unrolled: 1-line block ×4, first 2 shown]
	s_mov_b32 s8, 0x2a9d6da3
	s_waitcnt lgkmcnt(5)
	v_add_f64 v[124:125], v[18:19], -v[14:15]
	s_mov_b32 s2, 0x75d4884
	s_mov_b32 s9, 0xbfe58eea
	s_mov_b32 s12, 0xeb564b22
	ds_read_b128 v[40:43], v178 offset:21632
	ds_read_b128 v[44:47], v178 offset:6656
	v_add_f64 v[120:121], v[16:17], v[12:13]
	v_add_f64 v[122:123], v[18:19], v[14:15]
	s_mov_b32 s3, 0x3fe7a5f6
	v_mul_f64 v[86:87], v[124:125], s[8:9]
	s_mov_b32 s6, 0x3259b75e
	s_mov_b32 s13, 0xbfefdd0d
	s_waitcnt lgkmcnt(3)
	v_add_f64 v[136:137], v[26:27], -v[34:35]
	v_add_f64 v[128:129], v[16:17], -v[12:13]
	v_mul_f64 v[88:89], v[122:123], s[2:3]
	v_fma_f64 v[0:1], v[120:121], s[2:3], -v[86:87]
	s_mov_b32 s7, 0x3fb79ee6
	v_add_f64 v[126:127], v[24:25], v[32:33]
	v_add_f64 v[130:131], v[26:27], v[34:35]
	v_mul_f64 v[90:91], v[136:137], s[12:13]
	s_mov_b32 s14, 0x6c9a05f6
	ds_read_b128 v[48:51], v178 offset:8320
	ds_read_b128 v[52:55], v178 offset:19968
	v_add_f64 v[0:1], v[20:21], v[0:1]
	v_fma_f64 v[2:3], s[8:9], v[128:129], v[88:89]
	v_add_f64 v[140:141], v[24:25], -v[32:33]
	v_mul_f64 v[92:93], v[130:131], s[6:7]
	v_fma_f64 v[4:5], v[126:127], s[6:7], -v[90:91]
	s_mov_b32 s10, 0x6ed5f1bb
	s_mov_b32 s15, 0xbfe9895b
	s_waitcnt lgkmcnt(4)
	v_add_f64 v[144:145], v[30:31], -v[38:39]
	v_add_f64 v[2:3], v[22:23], v[2:3]
	v_add_f64 v[0:1], v[4:5], v[0:1]
	v_fma_f64 v[4:5], s[12:13], v[140:141], v[92:93]
	s_mov_b32 s11, 0xbfe348c8
	v_add_f64 v[134:135], v[28:29], v[36:37]
	v_mul_f64 v[94:95], v[144:145], s[14:15]
	v_add_f64 v[142:143], v[30:31], v[38:39]
	s_mov_b32 s18, 0xacd6c6b4
	ds_read_b128 v[56:59], v178 offset:18304
	ds_read_b128 v[60:63], v178 offset:9984
	v_add_f64 v[2:3], v[4:5], v[2:3]
	v_fma_f64 v[4:5], v[134:135], s[10:11], -v[94:95]
	v_add_f64 v[150:151], v[28:29], -v[36:37]
	v_mul_f64 v[96:97], v[142:143], s[10:11]
	s_mov_b32 s16, 0x7faef3
	s_mov_b32 s19, 0xbfc7851a
	s_waitcnt lgkmcnt(4)
	v_add_f64 v[162:163], v[46:47], -v[42:43]
	v_add_f64 v[0:1], v[4:5], v[0:1]
	v_fma_f64 v[4:5], s[14:15], v[150:151], v[96:97]
	s_mov_b32 s17, 0xbfef7484
	v_add_f64 v[152:153], v[44:45], v[40:41]
	v_mul_f64 v[98:99], v[162:163], s[18:19]
	v_add_f64 v[158:159], v[46:47], v[42:43]
	s_mov_b32 s34, 0x4363dd80
	ds_read_b128 v[64:67], v178 offset:11648
	ds_read_b128 v[68:71], v178 offset:16640
	v_add_f64 v[2:3], v[4:5], v[2:3]
	v_fma_f64 v[4:5], v[152:153], s[16:17], -v[98:99]
	v_add_f64 v[168:169], v[44:45], -v[40:41]
	v_mul_f64 v[102:103], v[158:159], s[16:17]
	s_mov_b32 s20, 0x910ea3b9
	s_mov_b32 s35, 0x3fe0d888
	s_waitcnt lgkmcnt(4)
	v_add_f64 v[166:167], v[50:51], -v[54:55]
	v_add_f64 v[0:1], v[4:5], v[0:1]
	v_fma_f64 v[4:5], s[18:19], v[168:169], v[102:103]
	s_mov_b32 s21, 0xbfeb34fa
	v_add_f64 v[156:157], v[48:49], v[52:53]
	v_mul_f64 v[100:101], v[166:167], s[34:35]
	v_add_f64 v[164:165], v[50:51], v[54:55]
	s_mov_b32 s36, 0x923c349f
	ds_read_b128 v[72:75], v178 offset:13312
	ds_read_b128 v[76:79], v178 offset:14976
	v_add_f64 v[2:3], v[4:5], v[2:3]
	v_fma_f64 v[4:5], v[156:157], s[20:21], -v[100:101]
	v_add_f64 v[174:175], v[48:49], -v[52:53]
	v_mul_f64 v[104:105], v[164:165], s[20:21]
	s_mov_b32 s22, 0xc61f0d01
	s_mov_b32 s37, 0x3feec746
	s_waitcnt lgkmcnt(4)
	v_add_f64 v[188:189], v[62:63], -v[58:59]
	v_add_f64 v[0:1], v[4:5], v[0:1]
	v_fma_f64 v[4:5], s[34:35], v[174:175], v[104:105]
	s_mov_b32 s23, 0xbfd183b1
	v_add_f64 v[172:173], v[60:61], v[56:57]
	v_mul_f64 v[106:107], v[188:189], s[36:37]
	v_add_f64 v[182:183], v[62:63], v[58:59]
	s_mov_b32 s30, 0x7c9e640b
	v_add_f64 v[2:3], v[4:5], v[2:3]
	v_fma_f64 v[4:5], v[172:173], s[22:23], -v[106:107]
	v_add_f64 v[194:195], v[60:61], -v[56:57]
	v_mul_f64 v[110:111], v[182:183], s[22:23]
	s_mov_b32 s24, 0x2b2883cd
	s_mov_b32 s31, 0xbfeca52d
	;; [unrolled: 1-line block ×4, first 2 shown]
	s_waitcnt lgkmcnt(2)
	v_add_f64 v[192:193], v[66:67], -v[70:71]
	v_add_f64 v[0:1], v[4:5], v[0:1]
	v_fma_f64 v[4:5], s[36:37], v[194:195], v[110:111]
	s_mov_b32 s25, 0x3fdc86fa
	v_add_f64 v[176:177], v[64:65], v[68:69]
	v_mul_f64 v[108:109], v[192:193], s[40:41]
	v_add_f64 v[184:185], v[66:67], v[70:71]
	s_mov_b32 s42, 0x5d8e7cdc
	v_add_f64 v[2:3], v[4:5], v[2:3]
	v_fma_f64 v[4:5], v[176:177], s[24:25], -v[108:109]
	v_add_f64 v[200:201], v[64:65], -v[68:69]
	v_mul_f64 v[186:187], v[184:185], s[24:25]
	s_mov_b32 s28, 0x370991
	s_mov_b32 s43, 0x3fd71e95
	s_waitcnt lgkmcnt(0)
	v_add_f64 v[202:203], v[74:75], -v[78:79]
	v_add_f64 v[0:1], v[4:5], v[0:1]
	v_fma_f64 v[4:5], s[40:41], v[200:201], v[186:187]
	s_mov_b32 s29, 0x3fedd6d0
	v_add_f64 v[190:191], v[72:73], v[76:77]
	v_mul_f64 v[198:199], v[202:203], s[42:43]
	v_add_f64 v[196:197], v[74:75], v[78:79]
	v_add_f64 v[2:3], v[4:5], v[2:3]
	v_fma_f64 v[4:5], v[190:191], s[28:29], -v[198:199]
	v_add_f64 v[208:209], v[72:73], -v[76:77]
	v_mul_f64 v[204:205], v[196:197], s[28:29]
	v_add_f64 v[0:1], v[4:5], v[0:1]
	v_fma_f64 v[4:5], s[42:43], v[208:209], v[204:205]
	v_mul_f64 v[206:207], v[124:125], s[30:31]
	v_add_f64 v[2:3], v[4:5], v[2:3]
	v_fma_f64 v[4:5], v[120:121], s[24:25], -v[206:207]
	v_mul_f64 v[210:211], v[136:137], s[14:15]
	v_add_f64 v[4:5], v[20:21], v[4:5]
	v_fma_f64 v[6:7], v[126:127], s[10:11], -v[210:211]
	v_mul_f64 v[228:229], v[122:123], s[24:25]
	v_add_f64 v[4:5], v[6:7], v[4:5]
	v_fma_f64 v[6:7], s[30:31], v[128:129], v[228:229]
	v_mul_f64 v[230:231], v[130:131], s[10:11]
	s_mov_b32 s47, 0x3fc7851a
	s_mov_b32 s46, s18
	v_add_f64 v[6:7], v[22:23], v[6:7]
	v_fma_f64 v[8:9], s[14:15], v[140:141], v[230:231]
	v_mul_f64 v[212:213], v[144:145], s[46:47]
	v_add_f64 v[6:7], v[8:9], v[6:7]
	v_fma_f64 v[8:9], v[134:135], s[16:17], -v[212:213]
	v_mul_f64 v[234:235], v[142:143], s[16:17]
	v_add_f64 v[4:5], v[8:9], v[4:5]
	v_fma_f64 v[8:9], s[46:47], v[150:151], v[234:235]
	v_mul_f64 v[222:223], v[162:163], s[36:37]
	v_add_f64 v[6:7], v[8:9], v[6:7]
	v_fma_f64 v[8:9], v[152:153], s[22:23], -v[222:223]
	v_mul_f64 v[238:239], v[158:159], s[22:23]
	s_mov_b32 s49, 0x3fe58eea
	s_mov_b32 s48, s8
	v_add_f64 v[4:5], v[8:9], v[4:5]
	v_fma_f64 v[8:9], s[36:37], v[168:169], v[238:239]
	v_mul_f64 v[224:225], v[166:167], s[48:49]
	v_add_f64 v[6:7], v[8:9], v[6:7]
	v_fma_f64 v[8:9], v[156:157], s[2:3], -v[224:225]
	v_mul_f64 v[240:241], v[164:165], s[2:3]
	s_mov_b32 s39, 0xbfd71e95
	s_mov_b32 s38, s42
	v_add_f64 v[4:5], v[8:9], v[4:5]
	v_fma_f64 v[8:9], s[48:49], v[174:175], v[240:241]
	v_mul_f64 v[226:227], v[188:189], s[38:39]
	v_add_f64 v[6:7], v[8:9], v[6:7]
	v_fma_f64 v[8:9], v[172:173], s[28:29], -v[226:227]
	v_mul_f64 v[242:243], v[182:183], s[28:29]
	v_add_f64 v[4:5], v[8:9], v[4:5]
	v_fma_f64 v[8:9], s[38:39], v[194:195], v[242:243]
	v_mul_f64 v[232:233], v[192:193], s[12:13]
	v_add_f64 v[6:7], v[8:9], v[6:7]
	v_fma_f64 v[8:9], v[176:177], s[6:7], -v[232:233]
	v_mul_f64 v[244:245], v[184:185], s[6:7]
	s_mov_b32 s45, 0xbfe0d888
	s_mov_b32 s44, s34
	v_add_f64 v[4:5], v[8:9], v[4:5]
	v_fma_f64 v[8:9], s[12:13], v[200:201], v[244:245]
	v_mul_f64 v[236:237], v[202:203], s[44:45]
	v_add_f64 v[6:7], v[8:9], v[6:7]
	v_fma_f64 v[8:9], v[190:191], s[20:21], -v[236:237]
	v_mul_f64 v[246:247], v[196:197], s[20:21]
	v_add_f64 v[4:5], v[8:9], v[4:5]
	v_fma_f64 v[8:9], s[44:45], v[208:209], v[246:247]
	v_mul_f64 v[112:113], v[124:125], s[12:13]
	v_add_f64 v[6:7], v[8:9], v[6:7]
	v_fma_f64 v[8:9], v[120:121], s[6:7], -v[112:113]
	v_mul_f64 v[114:115], v[136:137], s[18:19]
	v_add_f64 v[8:9], v[20:21], v[8:9]
	v_fma_f64 v[10:11], v[126:127], s[16:17], -v[114:115]
	v_mul_f64 v[252:253], v[122:123], s[6:7]
	v_add_f64 v[8:9], v[10:11], v[8:9]
	v_fma_f64 v[10:11], s[12:13], v[128:129], v[252:253]
	v_mul_f64 v[116:117], v[130:131], s[16:17]
	v_add_f64 v[10:11], v[22:23], v[10:11]
	v_fma_f64 v[80:81], s[18:19], v[140:141], v[116:117]
	v_mul_f64 v[248:249], v[144:145], s[36:37]
	v_add_f64 v[10:11], v[80:81], v[10:11]
	v_fma_f64 v[80:81], v[134:135], s[22:23], -v[248:249]
	v_mul_f64 v[138:139], v[142:143], s[22:23]
	v_add_f64 v[8:9], v[80:81], v[8:9]
	v_fma_f64 v[80:81], s[36:37], v[150:151], v[138:139]
	v_mul_f64 v[250:251], v[162:163], s[42:43]
	v_add_f64 v[10:11], v[80:81], v[10:11]
	v_fma_f64 v[80:81], v[152:153], s[28:29], -v[250:251]
	;; [unrolled: 6-line block ×4, first 2 shown]
	v_add_f64 v[8:9], v[80:81], v[8:9]
	v_mul_f64 v[80:81], v[182:183], s[20:21]
	s_mov_b32 s53, 0x3fe9895b
	s_mov_b32 s52, s14
	v_fma_f64 v[82:83], s[44:45], v[194:195], v[80:81]
	v_mul_f64 v[146:147], v[192:193], s[52:53]
	v_add_f64 v[10:11], v[82:83], v[10:11]
	v_fma_f64 v[82:83], v[176:177], s[10:11], -v[146:147]
	v_add_f64 v[8:9], v[82:83], v[8:9]
	v_mul_f64 v[82:83], v[184:185], s[10:11]
	v_fma_f64 v[84:85], s[52:53], v[200:201], v[82:83]
	v_mul_f64 v[154:155], v[202:203], s[48:49]
	v_add_f64 v[10:11], v[84:85], v[10:11]
	v_fma_f64 v[84:85], v[190:191], s[2:3], -v[154:155]
	v_mul_f64 v[170:171], v[196:197], s[2:3]
	v_add_f64 v[8:9], v[84:85], v[8:9]
	v_fma_f64 v[84:85], s[48:49], v[208:209], v[170:171]
	s_movk_i32 s26, 0x68
	v_add_f64 v[10:11], v[84:85], v[10:11]
	v_cmp_gt_u32_e32 vcc, s26, v118
	s_barrier
	s_and_saveexec_b64 s[26:27], vcc
	s_cbranch_execz .LBB0_13
; %bb.12:
	v_accvgpr_write_b32 a20, v88
	v_accvgpr_write_b32 a21, v89
	v_mul_f64 v[88:89], v[128:129], s[18:19]
	v_accvgpr_write_b32 a12, v90
	v_mul_f64 v[84:85], v[140:141], s[42:43]
	v_accvgpr_write_b32 a6, v86
	v_accvgpr_write_b32 a13, v91
	v_fma_f64 v[90:91], s[16:17], v[122:123], v[88:89]
	v_accvgpr_write_b32 a7, v87
	v_fma_f64 v[86:87], s[28:29], v[130:131], v[84:85]
	v_add_f64 v[90:91], v[22:23], v[90:91]
	v_add_f64 v[86:87], v[86:87], v[90:91]
	v_mul_f64 v[90:91], v[150:151], s[44:45]
	v_accvgpr_write_b32 a26, v92
	v_accvgpr_write_b32 a27, v93
	v_fma_f64 v[92:93], s[20:21], v[142:143], v[90:91]
	v_add_f64 v[86:87], v[92:93], v[86:87]
	v_mul_f64 v[92:93], v[168:169], s[48:49]
	v_accvgpr_write_b32 a18, v94
	v_accvgpr_write_b32 a19, v95
	v_fma_f64 v[94:95], s[2:3], v[158:159], v[92:93]
	;; [unrolled: 5-line block ×4, first 2 shown]
	s_mov_b32 s51, 0xbfeec746
	s_mov_b32 s50, s36
	v_add_f64 v[86:87], v[98:99], v[86:87]
	v_mul_f64 v[98:99], v[200:201], s[50:51]
	v_accvgpr_write_b32 a24, v100
	v_accvgpr_write_b32 a25, v101
	v_fma_f64 v[100:101], s[22:23], v[184:185], v[98:99]
	v_add_f64 v[86:87], v[100:101], v[86:87]
	v_mul_f64 v[100:101], v[124:125], s[18:19]
	v_accvgpr_write_b32 a34, v102
	v_accvgpr_write_b32 a36, v104
	v_accvgpr_write_b32 a35, v103
	v_fma_f64 v[102:103], v[120:121], s[16:17], -v[100:101]
	v_accvgpr_write_b32 a37, v105
	v_mul_f64 v[104:105], v[136:137], s[42:43]
	v_accvgpr_write_b32 a30, v106
	v_add_f64 v[102:103], v[20:21], v[102:103]
	v_accvgpr_write_b32 a31, v107
	v_fma_f64 v[106:107], v[126:127], s[28:29], -v[104:105]
	v_add_f64 v[102:103], v[106:107], v[102:103]
	v_mul_f64 v[106:107], v[144:145], s[44:45]
	v_accvgpr_write_b32 a32, v108
	v_accvgpr_write_b32 a33, v109
	v_fma_f64 v[108:109], v[134:135], s[20:21], -v[106:107]
	v_add_f64 v[102:103], v[108:109], v[102:103]
	v_mul_f64 v[108:109], v[162:163], s[48:49]
	v_accvgpr_write_b32 a40, v110
	;; [unrolled: 5-line block ×5, first 2 shown]
	v_accvgpr_write_b32 a39, v199
	v_fma_f64 v[198:199], v[176:177], s[22:23], -v[186:187]
	s_mov_b32 s55, 0x3fefdd0d
	s_mov_b32 s54, s12
	v_add_f64 v[102:103], v[198:199], v[102:103]
	v_mul_f64 v[198:199], v[208:209], s[54:55]
	v_accvgpr_write_b32 a44, v204
	v_accvgpr_write_b32 a45, v205
	v_fma_f64 v[204:205], s[6:7], v[196:197], v[198:199]
	v_accvgpr_write_b32 a48, v212
	v_accvgpr_write_b32 a49, v213
	v_add_f64 v[212:213], v[204:205], v[86:87]
	v_mul_f64 v[204:205], v[202:203], s[54:55]
	v_fma_f64 v[86:87], v[190:191], s[6:7], -v[204:205]
	v_accvgpr_write_b32 a46, v210
	v_accvgpr_write_b32 a47, v211
	v_add_f64 v[210:211], v[86:87], v[102:103]
	v_fma_f64 v[86:87], v[122:123], s[16:17], -v[88:89]
	v_fma_f64 v[84:85], v[130:131], s[28:29], -v[84:85]
	v_add_f64 v[86:87], v[22:23], v[86:87]
	v_add_f64 v[84:85], v[84:85], v[86:87]
	v_fma_f64 v[86:87], v[142:143], s[20:21], -v[90:91]
	v_add_f64 v[84:85], v[86:87], v[84:85]
	v_fma_f64 v[86:87], v[158:159], s[2:3], -v[92:93]
	;; [unrolled: 2-line block ×5, first 2 shown]
	v_fmac_f64_e32 v[100:101], s[16:17], v[120:121]
	v_add_f64 v[84:85], v[86:87], v[84:85]
	v_fmac_f64_e32 v[104:105], s[28:29], v[126:127]
	v_add_f64 v[86:87], v[20:21], v[100:101]
	v_add_f64 v[86:87], v[104:105], v[86:87]
	v_fmac_f64_e32 v[106:107], s[20:21], v[134:135]
	v_add_f64 v[86:87], v[106:107], v[86:87]
	v_fmac_f64_e32 v[108:109], s[2:3], v[152:153]
	;; [unrolled: 2-line block ×5, first 2 shown]
	v_add_f64 v[88:89], v[186:187], v[86:87]
	v_fma_f64 v[86:87], v[196:197], s[6:7], -v[198:199]
	v_fmac_f64_e32 v[204:205], s[6:7], v[190:191]
	v_mul_f64 v[92:93], v[128:129], s[44:45]
	v_add_f64 v[86:87], v[86:87], v[84:85]
	v_add_f64 v[84:85], v[204:205], v[88:89]
	v_fma_f64 v[88:89], s[20:21], v[122:123], v[92:93]
	v_mul_f64 v[94:95], v[140:141], s[40:41]
	v_add_f64 v[88:89], v[22:23], v[88:89]
	v_fma_f64 v[90:91], s[24:25], v[130:131], v[94:95]
	v_mul_f64 v[96:97], v[150:151], s[12:13]
	v_add_f64 v[88:89], v[90:91], v[88:89]
	v_fma_f64 v[90:91], s[6:7], v[142:143], v[96:97]
	v_mul_f64 v[98:99], v[168:169], s[52:53]
	v_add_f64 v[88:89], v[90:91], v[88:89]
	v_fma_f64 v[90:91], s[10:11], v[158:159], v[98:99]
	v_mul_f64 v[100:101], v[174:175], s[38:39]
	v_add_f64 v[88:89], v[90:91], v[88:89]
	v_fma_f64 v[90:91], s[28:29], v[164:165], v[100:101]
	v_mul_f64 v[102:103], v[194:195], s[18:19]
	v_add_f64 v[88:89], v[90:91], v[88:89]
	v_fma_f64 v[90:91], s[16:17], v[182:183], v[102:103]
	v_mul_f64 v[104:105], v[200:201], s[48:49]
	v_add_f64 v[88:89], v[90:91], v[88:89]
	v_fma_f64 v[90:91], s[2:3], v[184:185], v[104:105]
	v_mul_f64 v[106:107], v[124:125], s[44:45]
	v_add_f64 v[88:89], v[90:91], v[88:89]
	v_fma_f64 v[90:91], v[120:121], s[20:21], -v[106:107]
	v_mul_f64 v[108:109], v[136:137], s[40:41]
	v_add_f64 v[90:91], v[20:21], v[90:91]
	v_fma_f64 v[110:111], v[126:127], s[24:25], -v[108:109]
	v_add_f64 v[90:91], v[110:111], v[90:91]
	v_mul_f64 v[110:111], v[144:145], s[12:13]
	v_fma_f64 v[180:181], v[134:135], s[6:7], -v[110:111]
	v_add_f64 v[90:91], v[180:181], v[90:91]
	v_mul_f64 v[180:181], v[162:163], s[52:53]
	;; [unrolled: 3-line block ×4, first 2 shown]
	v_fma_f64 v[204:205], v[172:173], s[16:17], -v[198:199]
	v_accvgpr_write_b32 a8, v84
	v_add_f64 v[90:91], v[204:205], v[90:91]
	v_mul_f64 v[204:205], v[192:193], s[48:49]
	v_accvgpr_write_b32 a9, v85
	v_accvgpr_write_b32 a10, v86
	;; [unrolled: 1-line block ×3, first 2 shown]
	v_fma_f64 v[84:85], v[176:177], s[2:3], -v[204:205]
	v_mul_f64 v[86:87], v[208:209], s[50:51]
	v_accvgpr_write_b32 a50, v206
	v_add_f64 v[84:85], v[84:85], v[90:91]
	v_fma_f64 v[90:91], s[22:23], v[196:197], v[86:87]
	v_accvgpr_write_b32 a51, v207
	v_mul_f64 v[206:207], v[202:203], s[50:51]
	v_add_f64 v[90:91], v[90:91], v[88:89]
	v_fma_f64 v[88:89], v[190:191], s[22:23], -v[206:207]
	v_fma_f64 v[92:93], v[122:123], s[20:21], -v[92:93]
	v_add_f64 v[88:89], v[88:89], v[84:85]
	v_fma_f64 v[84:85], v[130:131], s[24:25], -v[94:95]
	v_add_f64 v[92:93], v[22:23], v[92:93]
	v_add_f64 v[84:85], v[84:85], v[92:93]
	v_fma_f64 v[92:93], v[142:143], s[6:7], -v[96:97]
	v_add_f64 v[84:85], v[92:93], v[84:85]
	v_fma_f64 v[92:93], v[158:159], s[10:11], -v[98:99]
	;; [unrolled: 2-line block ×6, first 2 shown]
	v_add_f64 v[94:95], v[86:87], v[84:85]
	v_mul_f64 v[84:85], v[128:129], s[14:15]
	v_fma_f64 v[86:87], s[10:11], v[122:123], v[84:85]
	v_mul_f64 v[100:101], v[140:141], s[36:37]
	v_add_f64 v[86:87], v[22:23], v[86:87]
	v_fma_f64 v[96:97], s[22:23], v[130:131], v[100:101]
	v_mul_f64 v[102:103], v[150:151], s[38:39]
	v_fmac_f64_e32 v[106:107], s[20:21], v[120:121]
	v_add_f64 v[86:87], v[96:97], v[86:87]
	v_fma_f64 v[96:97], s[28:29], v[142:143], v[102:103]
	v_mul_f64 v[104:105], v[168:169], s[44:45]
	v_fmac_f64_e32 v[108:109], s[24:25], v[126:127]
	v_add_f64 v[92:93], v[20:21], v[106:107]
	v_add_f64 v[86:87], v[96:97], v[86:87]
	v_fma_f64 v[96:97], s[20:21], v[158:159], v[104:105]
	v_mul_f64 v[106:107], v[174:175], s[54:55]
	v_add_f64 v[92:93], v[108:109], v[92:93]
	v_fmac_f64_e32 v[110:111], s[6:7], v[134:135]
	v_add_f64 v[86:87], v[96:97], v[86:87]
	v_fma_f64 v[96:97], s[6:7], v[164:165], v[106:107]
	v_mul_f64 v[108:109], v[194:195], s[8:9]
	v_add_f64 v[92:93], v[110:111], v[92:93]
	v_fmac_f64_e32 v[180:181], s[10:11], v[152:153]
	;; [unrolled: 5-line block ×4, first 2 shown]
	v_add_f64 v[86:87], v[96:97], v[86:87]
	v_fma_f64 v[96:97], v[120:121], s[10:11], -v[180:181]
	v_mul_f64 v[186:187], v[136:137], s[36:37]
	v_add_f64 v[92:93], v[198:199], v[92:93]
	v_fmac_f64_e32 v[204:205], s[2:3], v[176:177]
	v_add_f64 v[96:97], v[20:21], v[96:97]
	v_fma_f64 v[98:99], v[126:127], s[22:23], -v[186:187]
	v_mul_f64 v[198:199], v[144:145], s[38:39]
	v_add_f64 v[92:93], v[204:205], v[92:93]
	v_fmac_f64_e32 v[206:207], s[22:23], v[190:191]
	v_add_f64 v[96:97], v[98:99], v[96:97]
	v_fma_f64 v[98:99], v[134:135], s[28:29], -v[198:199]
	v_mul_f64 v[204:205], v[162:163], s[44:45]
	v_accvgpr_write_b32 a2, v210
	v_add_f64 v[92:93], v[206:207], v[92:93]
	v_add_f64 v[96:97], v[98:99], v[96:97]
	v_fma_f64 v[98:99], v[152:153], s[20:21], -v[204:205]
	v_mul_f64 v[206:207], v[166:167], s[54:55]
	v_accvgpr_write_b32 a3, v211
	v_accvgpr_write_b32 a4, v212
	;; [unrolled: 1-line block ×3, first 2 shown]
	v_add_f64 v[96:97], v[98:99], v[96:97]
	v_fma_f64 v[98:99], v[156:157], s[6:7], -v[206:207]
	v_mul_f64 v[210:211], v[188:189], s[8:9]
	v_add_f64 v[96:97], v[98:99], v[96:97]
	v_fma_f64 v[98:99], v[172:173], s[2:3], -v[210:211]
	v_mul_f64 v[212:213], v[192:193], s[18:19]
	;; [unrolled: 3-line block ×3, first 2 shown]
	v_add_f64 v[96:97], v[98:99], v[96:97]
	v_fma_f64 v[98:99], s[24:25], v[196:197], v[214:215]
	v_accvgpr_write_b32 a14, v88
	v_add_f64 v[98:99], v[98:99], v[86:87]
	v_mul_f64 v[86:87], v[202:203], s[40:41]
	v_accvgpr_write_b32 a15, v89
	v_accvgpr_write_b32 a16, v90
	;; [unrolled: 1-line block ×3, first 2 shown]
	v_fma_f64 v[88:89], v[190:191], s[24:25], -v[86:87]
	v_fma_f64 v[84:85], v[122:123], s[10:11], -v[84:85]
	v_add_f64 v[96:97], v[88:89], v[96:97]
	v_fma_f64 v[88:89], v[130:131], s[22:23], -v[100:101]
	v_add_f64 v[84:85], v[22:23], v[84:85]
	v_add_f64 v[84:85], v[88:89], v[84:85]
	v_fma_f64 v[88:89], v[142:143], s[28:29], -v[102:103]
	v_add_f64 v[84:85], v[88:89], v[84:85]
	v_fma_f64 v[88:89], v[158:159], s[20:21], -v[104:105]
	;; [unrolled: 2-line block ×5, first 2 shown]
	v_fmac_f64_e32 v[180:181], s[10:11], v[120:121]
	v_add_f64 v[84:85], v[88:89], v[84:85]
	v_fmac_f64_e32 v[186:187], s[22:23], v[126:127]
	v_add_f64 v[88:89], v[20:21], v[180:181]
	v_add_f64 v[88:89], v[186:187], v[88:89]
	v_fmac_f64_e32 v[198:199], s[28:29], v[134:135]
	v_add_f64 v[88:89], v[198:199], v[88:89]
	v_fmac_f64_e32 v[204:205], s[20:21], v[152:153]
	;; [unrolled: 2-line block ×5, first 2 shown]
	v_fma_f64 v[90:91], v[196:197], s[24:25], -v[214:215]
	v_add_f64 v[88:89], v[212:213], v[88:89]
	v_add_f64 v[102:103], v[90:91], v[84:85]
	v_fmac_f64_e32 v[86:87], s[24:25], v[190:191]
	v_mul_f64 v[84:85], v[128:129], s[50:51]
	v_add_f64 v[100:101], v[86:87], v[88:89]
	v_fma_f64 v[86:87], s[22:23], v[122:123], v[84:85]
	v_mul_f64 v[88:89], v[140:141], s[34:35]
	v_add_f64 v[86:87], v[22:23], v[86:87]
	v_fma_f64 v[90:91], s[20:21], v[130:131], v[88:89]
	v_add_f64 v[86:87], v[90:91], v[86:87]
	v_mul_f64 v[90:91], v[150:151], s[48:49]
	v_fma_f64 v[104:105], s[2:3], v[142:143], v[90:91]
	v_mul_f64 v[108:109], v[168:169], s[30:31]
	v_add_f64 v[86:87], v[104:105], v[86:87]
	v_fma_f64 v[104:105], s[24:25], v[158:159], v[108:109]
	v_mul_f64 v[110:111], v[174:175], s[18:19]
	v_fma_f64 v[84:85], v[122:123], s[22:23], -v[84:85]
	v_add_f64 v[86:87], v[104:105], v[86:87]
	v_fma_f64 v[104:105], s[16:17], v[164:165], v[110:111]
	v_mul_f64 v[180:181], v[194:195], s[54:55]
	v_fma_f64 v[88:89], v[130:131], s[20:21], -v[88:89]
	v_add_f64 v[84:85], v[22:23], v[84:85]
	v_add_f64 v[86:87], v[104:105], v[86:87]
	v_fma_f64 v[104:105], s[6:7], v[182:183], v[180:181]
	v_mul_f64 v[186:187], v[200:201], s[38:39]
	v_add_f64 v[84:85], v[88:89], v[84:85]
	v_fma_f64 v[88:89], v[142:143], s[2:3], -v[90:91]
	v_add_f64 v[86:87], v[104:105], v[86:87]
	v_fma_f64 v[104:105], s[28:29], v[184:185], v[186:187]
	v_mul_f64 v[198:199], v[124:125], s[50:51]
	v_add_f64 v[84:85], v[88:89], v[84:85]
	v_fma_f64 v[88:89], v[158:159], s[24:25], -v[108:109]
	v_add_f64 v[86:87], v[104:105], v[86:87]
	v_fma_f64 v[104:105], v[120:121], s[22:23], -v[198:199]
	v_mul_f64 v[204:205], v[136:137], s[34:35]
	v_add_f64 v[84:85], v[88:89], v[84:85]
	v_fma_f64 v[88:89], v[164:165], s[16:17], -v[110:111]
	v_add_f64 v[104:105], v[20:21], v[104:105]
	v_fma_f64 v[106:107], v[126:127], s[20:21], -v[204:205]
	;; [unrolled: 5-line block ×3, first 2 shown]
	v_mul_f64 v[210:211], v[162:163], s[30:31]
	v_add_f64 v[84:85], v[88:89], v[84:85]
	v_fma_f64 v[88:89], v[184:185], s[28:29], -v[186:187]
	v_fmac_f64_e32 v[198:199], s[22:23], v[120:121]
	v_add_f64 v[104:105], v[106:107], v[104:105]
	v_fma_f64 v[106:107], v[152:153], s[24:25], -v[210:211]
	v_mul_f64 v[212:213], v[166:167], s[18:19]
	v_add_f64 v[84:85], v[88:89], v[84:85]
	v_fmac_f64_e32 v[204:205], s[20:21], v[126:127]
	v_add_f64 v[88:89], v[20:21], v[198:199]
	v_add_f64 v[104:105], v[106:107], v[104:105]
	v_fma_f64 v[106:107], v[156:157], s[16:17], -v[212:213]
	v_mul_f64 v[214:215], v[188:189], s[54:55]
	v_mul_f64 v[218:219], v[208:209], s[14:15]
	v_add_f64 v[88:89], v[204:205], v[88:89]
	v_fmac_f64_e32 v[206:207], s[2:3], v[134:135]
	v_add_f64 v[104:105], v[106:107], v[104:105]
	v_fma_f64 v[106:107], v[172:173], s[6:7], -v[214:215]
	v_mul_f64 v[216:217], v[192:193], s[38:39]
	v_add_f64 v[88:89], v[206:207], v[88:89]
	v_fmac_f64_e32 v[210:211], s[24:25], v[152:153]
	v_fma_f64 v[90:91], v[196:197], s[10:11], -v[218:219]
	v_add_f64 v[104:105], v[106:107], v[104:105]
	v_fma_f64 v[106:107], v[176:177], s[28:29], -v[216:217]
	v_add_f64 v[88:89], v[210:211], v[88:89]
	v_fmac_f64_e32 v[212:213], s[16:17], v[156:157]
	v_add_f64 v[110:111], v[90:91], v[84:85]
	v_mul_f64 v[90:91], v[150:151], s[36:37]
	v_add_f64 v[104:105], v[106:107], v[104:105]
	v_fma_f64 v[106:107], s[10:11], v[196:197], v[218:219]
	v_add_f64 v[88:89], v[212:213], v[88:89]
	v_fmac_f64_e32 v[214:215], s[6:7], v[172:173]
	v_add_f64 v[90:91], v[138:139], -v[90:91]
	v_mul_f64 v[138:139], v[140:141], s[18:19]
	v_add_f64 v[106:107], v[106:107], v[86:87]
	v_mul_f64 v[86:87], v[202:203], s[14:15]
	v_add_f64 v[88:89], v[214:215], v[88:89]
	v_fmac_f64_e32 v[216:217], s[28:29], v[176:177]
	v_add_f64 v[116:117], v[116:117], -v[138:139]
	v_mul_f64 v[138:139], v[128:129], s[12:13]
	v_fma_f64 v[220:221], v[190:191], s[10:11], -v[86:87]
	v_add_f64 v[88:89], v[216:217], v[88:89]
	v_fmac_f64_e32 v[86:87], s[10:11], v[190:191]
	v_add_f64 v[138:139], v[252:253], -v[138:139]
	v_add_f64 v[108:109], v[86:87], v[88:89]
	v_mul_f64 v[86:87], v[200:201], s[52:53]
	v_add_f64 v[138:139], v[22:23], v[138:139]
	v_add_f64 v[82:83], v[82:83], -v[86:87]
	v_mul_f64 v[86:87], v[194:195], s[44:45]
	v_mul_f64 v[88:89], v[168:169], s[42:43]
	v_add_f64 v[116:117], v[116:117], v[138:139]
	v_add_f64 v[80:81], v[80:81], -v[86:87]
	v_mul_f64 v[86:87], v[174:175], s[30:31]
	v_add_f64 v[88:89], v[148:149], -v[88:89]
	v_add_f64 v[90:91], v[90:91], v[116:117]
	v_mul_f64 v[138:139], v[126:127], s[16:17]
	v_add_f64 v[86:87], v[160:161], -v[86:87]
	v_add_f64 v[88:89], v[88:89], v[90:91]
	v_add_f64 v[114:115], v[138:139], v[114:115]
	v_mul_f64 v[138:139], v[120:121], s[6:7]
	v_add_f64 v[86:87], v[86:87], v[88:89]
	v_mul_f64 v[88:89], v[172:173], s[20:21]
	v_add_f64 v[112:113], v[138:139], v[112:113]
	v_add_f64 v[88:89], v[88:89], v[132:133]
	v_mul_f64 v[132:133], v[134:135], s[22:23]
	v_add_f64 v[112:113], v[20:21], v[112:113]
	v_mul_f64 v[116:117], v[152:153], s[28:29]
	v_add_f64 v[132:133], v[132:133], v[248:249]
	v_add_f64 v[112:113], v[114:115], v[112:113]
	v_mul_f64 v[90:91], v[156:157], s[24:25]
	v_add_f64 v[116:117], v[116:117], v[250:251]
	;; [unrolled: 3-line block ×3, first 2 shown]
	v_add_f64 v[112:113], v[116:117], v[112:113]
	v_mul_f64 v[132:133], v[140:141], s[14:15]
	v_add_f64 v[138:139], v[228:229], -v[138:139]
	v_add_f64 v[80:81], v[80:81], v[86:87]
	v_mul_f64 v[86:87], v[176:177], s[10:11]
	v_add_f64 v[90:91], v[90:91], v[112:113]
	v_mul_f64 v[116:117], v[150:151], s[46:47]
	v_add_f64 v[132:133], v[230:231], -v[132:133]
	v_add_f64 v[138:139], v[22:23], v[138:139]
	v_add_f64 v[86:87], v[86:87], v[146:147]
	;; [unrolled: 1-line block ×3, first 2 shown]
	v_mul_f64 v[90:91], v[168:169], s[36:37]
	v_add_f64 v[116:117], v[234:235], -v[116:117]
	v_add_f64 v[132:133], v[132:133], v[138:139]
	v_add_f64 v[86:87], v[86:87], v[88:89]
	v_mul_f64 v[88:89], v[174:175], s[48:49]
	v_add_f64 v[90:91], v[238:239], -v[90:91]
	v_add_f64 v[116:117], v[116:117], v[132:133]
	v_accvgpr_read_b32 v205, a51
	v_add_f64 v[88:89], v[240:241], -v[88:89]
	v_mul_f64 v[138:139], v[120:121], s[24:25]
	v_add_f64 v[90:91], v[90:91], v[116:117]
	v_accvgpr_read_b32 v199, a47
	v_accvgpr_read_b32 v204, a50
	v_add_f64 v[88:89], v[88:89], v[90:91]
	v_mul_f64 v[90:91], v[126:127], s[10:11]
	v_accvgpr_read_b32 v187, a49
	v_accvgpr_read_b32 v198, a46
	v_add_f64 v[138:139], v[138:139], v[204:205]
	v_mul_f64 v[84:85], v[208:209], s[48:49]
	v_add_f64 v[80:81], v[82:83], v[80:81]
	v_mul_f64 v[82:83], v[190:191], s[2:3]
	v_mul_f64 v[180:181], v[134:135], s[16:17]
	v_accvgpr_read_b32 v186, a48
	v_add_f64 v[90:91], v[90:91], v[198:199]
	v_add_f64 v[138:139], v[20:21], v[138:139]
	v_add_f64 v[84:85], v[170:171], -v[84:85]
	v_add_f64 v[82:83], v[82:83], v[154:155]
	v_mul_f64 v[170:171], v[152:153], s[22:23]
	v_add_f64 v[180:181], v[180:181], v[186:187]
	v_add_f64 v[90:91], v[90:91], v[138:139]
	;; [unrolled: 1-line block ×3, first 2 shown]
	v_mul_f64 v[86:87], v[194:195], s[38:39]
	v_mul_f64 v[160:161], v[156:157], s[2:3]
	v_add_f64 v[170:171], v[170:171], v[222:223]
	v_add_f64 v[90:91], v[180:181], v[90:91]
	v_mul_f64 v[82:83], v[200:201], s[12:13]
	v_add_f64 v[86:87], v[242:243], -v[86:87]
	v_mul_f64 v[154:155], v[172:173], s[28:29]
	v_add_f64 v[160:161], v[160:161], v[224:225]
	v_add_f64 v[90:91], v[170:171], v[90:91]
	v_add_f64 v[82:83], v[244:245], -v[82:83]
	v_add_f64 v[86:87], v[86:87], v[88:89]
	v_mul_f64 v[148:149], v[176:177], s[6:7]
	v_add_f64 v[154:155], v[154:155], v[226:227]
	v_add_f64 v[90:91], v[160:161], v[90:91]
	;; [unrolled: 1-line block ×3, first 2 shown]
	v_mul_f64 v[80:81], v[208:209], s[44:45]
	v_add_f64 v[82:83], v[82:83], v[86:87]
	v_mul_f64 v[86:87], v[190:191], s[20:21]
	v_add_f64 v[148:149], v[148:149], v[232:233]
	v_add_f64 v[90:91], v[154:155], v[90:91]
	v_add_f64 v[80:81], v[246:247], -v[80:81]
	v_add_f64 v[86:87], v[86:87], v[236:237]
	v_add_f64 v[90:91], v[148:149], v[90:91]
	v_accvgpr_read_b32 v207, a45
	v_add_f64 v[82:83], v[80:81], v[82:83]
	v_add_f64 v[80:81], v[86:87], v[90:91]
	v_mul_f64 v[90:91], v[208:209], s[42:43]
	v_accvgpr_read_b32 v206, a44
	v_add_f64 v[90:91], v[206:207], -v[90:91]
	v_accvgpr_read_b32 v207, a43
	v_mul_f64 v[148:149], v[200:201], s[40:41]
	v_accvgpr_read_b32 v206, a42
	v_add_f64 v[148:149], v[206:207], -v[148:149]
	v_accvgpr_read_b32 v207, a41
	;; [unrolled: 4-line block ×7, first 2 shown]
	v_mul_f64 v[146:147], v[128:129], s[8:9]
	v_accvgpr_read_b32 v206, a20
	v_add_f64 v[146:147], v[206:207], -v[146:147]
	v_add_f64 v[146:147], v[22:23], v[146:147]
	v_add_f64 v[116:117], v[116:117], v[146:147]
	;; [unrolled: 1-line block ×8, first 2 shown]
	v_accvgpr_read_b32 v91, a39
	v_mul_f64 v[86:87], v[190:191], s[28:29]
	v_accvgpr_read_b32 v90, a38
	v_add_f64 v[86:87], v[86:87], v[90:91]
	v_accvgpr_read_b32 v91, a33
	v_mul_f64 v[154:155], v[176:177], s[24:25]
	v_accvgpr_read_b32 v90, a32
	v_add_f64 v[90:91], v[154:155], v[90:91]
	;; [unrolled: 4-line block ×4, first 2 shown]
	v_accvgpr_read_b32 v155, a7
	v_mul_f64 v[84:85], v[120:121], s[2:3]
	v_accvgpr_read_b32 v147, a25
	v_accvgpr_read_b32 v154, a6
	v_mul_f64 v[138:139], v[156:157], s[20:21]
	v_accvgpr_read_b32 v146, a24
	v_add_f64 v[84:85], v[84:85], v[154:155]
	v_add_f64 v[138:139], v[138:139], v[146:147]
	v_accvgpr_read_b32 v147, a23
	v_add_f64 v[84:85], v[20:21], v[84:85]
	v_mul_f64 v[128:129], v[128:129], s[38:39]
	v_mul_f64 v[198:199], v[152:153], s[16:17]
	v_accvgpr_read_b32 v117, a31
	v_accvgpr_read_b32 v146, a22
	v_add_f64 v[84:85], v[132:133], v[84:85]
	v_mul_f64 v[140:141], v[140:141], s[8:9]
	v_fma_f64 v[180:181], s[28:29], v[122:123], v[128:129]
	v_mul_f64 v[170:171], v[172:173], s[22:23]
	v_accvgpr_read_b32 v116, a30
	v_add_f64 v[146:147], v[198:199], v[146:147]
	v_add_f64 v[84:85], v[88:89], v[84:85]
	v_mul_f64 v[154:155], v[174:175], s[50:51]
	v_mul_f64 v[150:151], v[150:151], s[30:31]
	v_fma_f64 v[174:175], s[2:3], v[130:131], v[140:141]
	v_add_f64 v[180:181], v[22:23], v[180:181]
	v_add_f64 v[116:117], v[170:171], v[116:117]
	;; [unrolled: 1-line block ×3, first 2 shown]
	v_mul_f64 v[160:161], v[168:169], s[12:13]
	v_fma_f64 v[170:171], s[24:25], v[142:143], v[150:151]
	v_add_f64 v[174:175], v[174:175], v[180:181]
	v_add_f64 v[84:85], v[138:139], v[84:85]
	v_fma_f64 v[168:169], s[6:7], v[158:159], v[160:161]
	v_add_f64 v[170:171], v[170:171], v[174:175]
	v_add_f64 v[84:85], v[116:117], v[84:85]
	v_mul_f64 v[116:117], v[194:195], s[14:15]
	v_fma_f64 v[138:139], s[22:23], v[164:165], v[154:155]
	v_add_f64 v[168:169], v[168:169], v[170:171]
	v_mul_f64 v[88:89], v[200:201], s[44:45]
	v_fma_f64 v[132:133], s[10:11], v[182:183], v[116:117]
	v_add_f64 v[138:139], v[138:139], v[168:169]
	v_add_f64 v[84:85], v[90:91], v[84:85]
	v_fma_f64 v[90:91], s[20:21], v[184:185], v[88:89]
	v_add_f64 v[132:133], v[132:133], v[138:139]
	v_mul_f64 v[124:125], v[124:125], s[38:39]
	v_add_f64 v[90:91], v[90:91], v[132:133]
	v_mul_f64 v[132:133], v[192:193], s[44:45]
	v_mul_f64 v[192:193], v[136:137], s[8:9]
	v_fma_f64 v[194:195], v[120:121], s[28:29], -v[124:125]
	v_mul_f64 v[144:145], v[144:145], s[30:31]
	v_fma_f64 v[136:137], v[126:127], s[2:3], -v[192:193]
	v_add_f64 v[194:195], v[20:21], v[194:195]
	v_mul_f64 v[170:171], v[188:189], s[14:15]
	v_mul_f64 v[162:163], v[162:163], s[12:13]
	v_fma_f64 v[188:189], v[134:135], s[24:25], -v[144:145]
	v_add_f64 v[136:137], v[136:137], v[194:195]
	v_mul_f64 v[166:167], v[166:167], s[50:51]
	v_fma_f64 v[186:187], v[152:153], s[6:7], -v[162:163]
	v_add_f64 v[136:137], v[188:189], v[136:137]
	v_add_f64 v[146:147], v[86:87], v[84:85]
	v_mul_f64 v[84:85], v[208:209], s[18:19]
	v_fma_f64 v[180:181], v[156:157], s[22:23], -v[166:167]
	v_add_f64 v[136:137], v[186:187], v[136:137]
	v_add_f64 v[18:19], v[22:23], v[18:19]
	;; [unrolled: 1-line block ×3, first 2 shown]
	v_fma_f64 v[86:87], s[16:17], v[196:197], v[84:85]
	v_fma_f64 v[174:175], v[172:173], s[10:11], -v[170:171]
	v_add_f64 v[136:137], v[180:181], v[136:137]
	v_fma_f64 v[122:123], v[122:123], s[28:29], -v[128:129]
	v_add_f64 v[18:19], v[18:19], v[26:27]
	v_add_f64 v[16:17], v[16:17], v[24:25]
	;; [unrolled: 1-line block ×3, first 2 shown]
	v_mul_f64 v[86:87], v[202:203], s[18:19]
	v_fma_f64 v[168:169], v[176:177], s[20:21], -v[132:133]
	v_add_f64 v[136:137], v[174:175], v[136:137]
	v_fma_f64 v[130:131], v[130:131], s[2:3], -v[140:141]
	v_add_f64 v[122:123], v[22:23], v[122:123]
	v_add_f64 v[18:19], v[18:19], v[30:31]
	;; [unrolled: 1-line block ×3, first 2 shown]
	v_fma_f64 v[90:91], v[190:191], s[16:17], -v[86:87]
	v_add_f64 v[136:137], v[168:169], v[136:137]
	v_fma_f64 v[142:143], v[142:143], s[24:25], -v[150:151]
	v_add_f64 v[122:123], v[130:131], v[122:123]
	v_add_f64 v[18:19], v[18:19], v[46:47]
	;; [unrolled: 1-line block ×4, first 2 shown]
	v_fma_f64 v[90:91], v[182:183], s[10:11], -v[116:117]
	v_fma_f64 v[116:117], v[164:165], s[22:23], -v[154:155]
	;; [unrolled: 1-line block ×3, first 2 shown]
	v_add_f64 v[122:123], v[142:143], v[122:123]
	v_add_f64 v[18:19], v[18:19], v[50:51]
	;; [unrolled: 1-line block ×9, first 2 shown]
	v_fma_f64 v[88:89], v[184:185], s[20:21], -v[88:89]
	v_add_f64 v[90:91], v[90:91], v[116:117]
	v_add_f64 v[18:19], v[18:19], v[74:75]
	;; [unrolled: 1-line block ×3, first 2 shown]
	v_fma_f64 v[84:85], v[196:197], s[16:17], -v[84:85]
	v_add_f64 v[88:89], v[88:89], v[90:91]
	v_fmac_f64_e32 v[124:125], s[28:29], v[120:121]
	v_add_f64 v[18:19], v[18:19], v[78:79]
	v_add_f64 v[16:17], v[16:17], v[76:77]
	v_add_f64 v[122:123], v[84:85], v[88:89]
	v_fmac_f64_e32 v[192:193], s[2:3], v[126:127]
	v_add_f64 v[84:85], v[20:21], v[124:125]
	v_add_f64 v[18:19], v[18:19], v[70:71]
	;; [unrolled: 4-line block ×6, first 2 shown]
	v_add_f64 v[16:17], v[16:17], v[36:37]
	v_accvgpr_read_b32 v181, a1
	v_fmac_f64_e32 v[132:133], s[20:21], v[176:177]
	v_add_f64 v[84:85], v[170:171], v[84:85]
	v_add_f64 v[18:19], v[18:19], v[34:35]
	;; [unrolled: 1-line block ×3, first 2 shown]
	v_accvgpr_read_b32 v180, a0
	v_fmac_f64_e32 v[86:87], s[16:17], v[190:191]
	v_add_f64 v[84:85], v[132:133], v[84:85]
	v_add_f64 v[14:15], v[18:19], v[14:15]
	;; [unrolled: 1-line block ×3, first 2 shown]
	v_lshl_add_u32 v16, v118, 8, v178
	v_add_f64 v[104:105], v[220:221], v[104:105]
	v_add_f64 v[120:121], v[86:87], v[84:85]
	ds_write_b128 v16, v[12:15]
	ds_write_b128 v16, v[120:123] offset:16
	ds_write_b128 v16, v[146:149] offset:32
	;; [unrolled: 1-line block ×16, first 2 shown]
.LBB0_13:
	s_or_b64 exec, exec, s[26:27]
	s_movk_i32 s2, 0xf1
	v_mul_lo_u16_sdwa v12, v118, s2 dst_sel:DWORD dst_unused:UNUSED_PAD src0_sel:BYTE_0 src1_sel:DWORD
	v_lshrrev_b16_e32 v50, 12, v12
	v_mul_lo_u16_e32 v12, 17, v50
	v_sub_u16_e32 v51, v118, v12
	v_mov_b32_e32 v12, 12
	v_mul_u32_u24_sdwa v12, v51, v12 dst_sel:DWORD dst_unused:UNUSED_PAD src0_sel:BYTE_0 src1_sel:DWORD
	v_lshlrev_b32_e32 v12, 4, v12
	s_waitcnt lgkmcnt(0)
	s_barrier
	global_load_dwordx4 v[20:23], v12, s[4:5]
	global_load_dwordx4 v[28:31], v12, s[4:5] offset:16
	global_load_dwordx4 v[32:35], v12, s[4:5] offset:32
	global_load_dwordx4 v[40:43], v12, s[4:5] offset:48
	global_load_dwordx4 v[52:55], v12, s[4:5] offset:64
	global_load_dwordx4 v[56:59], v12, s[4:5] offset:80
	global_load_dwordx4 v[60:63], v12, s[4:5] offset:96
	global_load_dwordx4 v[64:67], v12, s[4:5] offset:112
	global_load_dwordx4 v[68:71], v12, s[4:5] offset:128
	global_load_dwordx4 v[72:75], v12, s[4:5] offset:144
	global_load_dwordx4 v[76:79], v12, s[4:5] offset:160
	global_load_dwordx4 v[80:83], v12, s[4:5] offset:176
	ds_read_b128 v[12:15], v178
	ds_read_b128 v[84:87], v178 offset:2176
	ds_read_b128 v[88:91], v178 offset:4352
	;; [unrolled: 1-line block ×12, first 2 shown]
	s_mov_b32 s16, 0x4267c47c
	s_mov_b32 s10, 0x42a4c3d2
	;; [unrolled: 1-line block ×36, first 2 shown]
	s_waitcnt lgkmcnt(0)
	s_barrier
	s_waitcnt vmcnt(11)
	v_mul_f64 v[116:117], v[86:87], v[22:23]
	v_mul_f64 v[22:23], v[84:85], v[22:23]
	s_waitcnt vmcnt(10)
	v_mul_f64 v[136:137], v[90:91], v[30:31]
	v_mul_f64 v[30:31], v[88:89], v[30:31]
	;; [unrolled: 3-line block ×3, first 2 shown]
	v_fmac_f64_e32 v[116:117], v[84:85], v[20:21]
	v_fma_f64 v[84:85], v[86:87], v[20:21], -v[22:23]
	v_fma_f64 v[86:87], v[90:91], v[28:29], -v[30:31]
	;; [unrolled: 1-line block ×3, first 2 shown]
	v_add_f64 v[34:35], v[14:15], v[84:85]
	s_waitcnt vmcnt(8)
	v_mul_f64 v[36:37], v[98:99], v[42:43]
	v_mul_f64 v[42:43], v[96:97], v[42:43]
	v_add_f64 v[34:35], v[34:35], v[86:87]
	s_waitcnt vmcnt(7)
	v_mul_f64 v[24:25], v[102:103], v[54:55]
	v_mul_f64 v[54:55], v[100:101], v[54:55]
	v_fmac_f64_e32 v[36:37], v[96:97], v[40:41]
	v_fma_f64 v[40:41], v[98:99], v[40:41], -v[42:43]
	v_add_f64 v[34:35], v[34:35], v[48:49]
	s_waitcnt vmcnt(6)
	v_mul_f64 v[16:17], v[106:107], v[58:59]
	v_mul_f64 v[58:59], v[104:105], v[58:59]
	v_fmac_f64_e32 v[136:137], v[88:89], v[28:29]
	v_fma_f64 v[28:29], v[102:103], v[52:53], -v[54:55]
	v_add_f64 v[34:35], v[34:35], v[40:41]
	s_waitcnt vmcnt(5)
	v_mul_f64 v[18:19], v[110:111], v[62:63]
	v_mul_f64 v[62:63], v[108:109], v[62:63]
	v_fma_f64 v[20:21], v[106:107], v[56:57], -v[58:59]
	v_add_f64 v[34:35], v[34:35], v[28:29]
	s_waitcnt vmcnt(4)
	v_mul_f64 v[26:27], v[114:115], v[66:67]
	v_mul_f64 v[66:67], v[112:113], v[66:67]
	;; [unrolled: 5-line block ×5, first 2 shown]
	v_fmac_f64_e32 v[24:25], v[100:101], v[52:53]
	v_fma_f64 v[52:53], v[126:127], v[72:73], -v[74:75]
	v_add_f64 v[34:35], v[34:35], v[42:43]
	s_waitcnt vmcnt(0)
	v_mul_f64 v[140:141], v[134:135], v[82:83]
	v_mul_f64 v[82:83], v[132:133], v[82:83]
	v_fma_f64 v[54:55], v[130:131], v[76:77], -v[78:79]
	v_add_f64 v[34:35], v[34:35], v[52:53]
	v_fmac_f64_e32 v[16:17], v[104:105], v[56:57]
	v_fma_f64 v[56:57], v[134:135], v[80:81], -v[82:83]
	v_add_f64 v[34:35], v[34:35], v[54:55]
	v_fmac_f64_e32 v[18:19], v[108:109], v[60:61]
	v_fmac_f64_e32 v[140:141], v[132:133], v[80:81]
	v_add_f64 v[34:35], v[34:35], v[56:57]
	v_add_f64 v[60:61], v[84:85], v[56:57]
	v_add_f64 v[56:57], v[84:85], -v[56:57]
	v_fmac_f64_e32 v[26:27], v[112:113], v[64:65]
	v_fmac_f64_e32 v[46:47], v[124:125], v[72:73]
	v_add_f64 v[58:59], v[116:117], v[140:141]
	v_mul_f64 v[64:65], v[56:57], s[16:17]
	v_mul_f64 v[72:73], v[56:57], s[10:11]
	;; [unrolled: 1-line block ×6, first 2 shown]
	v_fmac_f64_e32 v[44:45], v[92:93], v[32:33]
	v_fmac_f64_e32 v[38:39], v[120:121], v[68:69]
	;; [unrolled: 1-line block ×3, first 2 shown]
	v_add_f64 v[62:63], v[116:117], -v[140:141]
	v_fma_f64 v[66:67], s[18:19], v[58:59], v[64:65]
	v_mul_f64 v[68:69], v[60:61], s[18:19]
	v_fma_f64 v[64:65], v[58:59], s[18:19], -v[64:65]
	v_fma_f64 v[74:75], s[12:13], v[58:59], v[72:73]
	v_mul_f64 v[76:77], v[60:61], s[12:13]
	v_fma_f64 v[72:73], v[58:59], s[12:13], -v[72:73]
	;; [unrolled: 3-line block ×6, first 2 shown]
	v_add_f64 v[58:59], v[86:87], v[54:55]
	v_add_f64 v[54:55], v[86:87], -v[54:55]
	v_add_f64 v[32:33], v[12:13], v[116:117]
	v_add_f64 v[66:67], v[12:13], v[66:67]
	v_fma_f64 v[70:71], s[20:21], v[62:63], v[68:69]
	v_add_f64 v[64:65], v[12:13], v[64:65]
	v_fmac_f64_e32 v[68:69], s[16:17], v[62:63]
	v_add_f64 v[74:75], v[12:13], v[74:75]
	v_fma_f64 v[78:79], s[14:15], v[62:63], v[76:77]
	v_add_f64 v[72:73], v[12:13], v[72:73]
	v_fmac_f64_e32 v[76:77], s[10:11], v[62:63]
	;; [unrolled: 4-line block ×6, first 2 shown]
	v_add_f64 v[56:57], v[136:137], v[138:139]
	v_mul_f64 v[62:63], v[54:55], s[10:11]
	v_fma_f64 v[86:87], s[12:13], v[56:57], v[62:63]
	v_add_f64 v[70:71], v[14:15], v[70:71]
	v_add_f64 v[68:69], v[14:15], v[68:69]
	;; [unrolled: 1-line block ×12, first 2 shown]
	v_add_f64 v[60:61], v[136:137], -v[138:139]
	v_add_f64 v[66:67], v[86:87], v[66:67]
	v_mul_f64 v[86:87], v[58:59], s[12:13]
	v_fma_f64 v[110:111], s[14:15], v[60:61], v[86:87]
	v_fma_f64 v[62:63], v[56:57], s[12:13], -v[62:63]
	v_fmac_f64_e32 v[86:87], s[10:11], v[60:61]
	v_add_f64 v[62:63], v[62:63], v[64:65]
	v_add_f64 v[64:65], v[86:87], v[68:69]
	v_mul_f64 v[68:69], v[54:55], s[22:23]
	v_fma_f64 v[86:87], s[24:25], v[56:57], v[68:69]
	v_add_f64 v[74:75], v[86:87], v[74:75]
	v_mul_f64 v[86:87], v[58:59], s[24:25]
	v_add_f64 v[70:71], v[110:111], v[70:71]
	v_fma_f64 v[110:111], s[26:27], v[60:61], v[86:87]
	v_fma_f64 v[68:69], v[56:57], s[24:25], -v[68:69]
	v_fmac_f64_e32 v[86:87], s[22:23], v[60:61]
	v_add_f64 v[68:69], v[68:69], v[72:73]
	v_add_f64 v[72:73], v[86:87], v[76:77]
	v_mul_f64 v[76:77], v[54:55], s[36:37]
	v_fma_f64 v[86:87], s[38:39], v[56:57], v[76:77]
	v_add_f64 v[82:83], v[86:87], v[82:83]
	v_mul_f64 v[86:87], v[58:59], s[38:39]
	v_add_f64 v[78:79], v[110:111], v[78:79]
	v_fma_f64 v[110:111], s[40:41], v[60:61], v[86:87]
	v_fma_f64 v[76:77], v[56:57], s[38:39], -v[76:77]
	v_fmac_f64_e32 v[86:87], s[36:37], v[60:61]
	v_add_f64 v[76:77], v[76:77], v[80:81]
	v_add_f64 v[80:81], v[86:87], v[84:85]
	v_mul_f64 v[84:85], v[54:55], s[34:35]
	v_add_f64 v[32:33], v[32:33], v[136:137]
	v_fma_f64 v[86:87], s[30:31], v[56:57], v[84:85]
	v_add_f64 v[32:33], v[32:33], v[44:45]
	v_add_f64 v[86:87], v[86:87], v[92:93]
	v_mul_f64 v[92:93], v[58:59], s[30:31]
	v_add_f64 v[32:33], v[32:33], v[36:37]
	v_add_f64 v[88:89], v[110:111], v[88:89]
	v_fma_f64 v[110:111], s[28:29], v[60:61], v[92:93]
	v_fma_f64 v[84:85], v[56:57], s[30:31], -v[84:85]
	v_fmac_f64_e32 v[92:93], s[34:35], v[60:61]
	v_add_f64 v[32:33], v[32:33], v[24:25]
	v_add_f64 v[84:85], v[84:85], v[90:91]
	;; [unrolled: 1-line block ×3, first 2 shown]
	v_mul_f64 v[92:93], v[54:55], s[8:9]
	v_add_f64 v[32:33], v[32:33], v[16:17]
	v_fma_f64 v[94:95], s[6:7], v[56:57], v[92:93]
	v_add_f64 v[32:33], v[32:33], v[18:19]
	v_add_f64 v[94:95], v[94:95], v[100:101]
	v_mul_f64 v[100:101], v[58:59], s[6:7]
	v_add_f64 v[32:33], v[32:33], v[26:27]
	v_add_f64 v[96:97], v[110:111], v[96:97]
	v_fma_f64 v[110:111], s[2:3], v[60:61], v[100:101]
	v_fma_f64 v[92:93], v[56:57], s[6:7], -v[92:93]
	v_fmac_f64_e32 v[100:101], s[8:9], v[60:61]
	v_mul_f64 v[54:55], v[54:55], s[20:21]
	v_add_f64 v[32:33], v[32:33], v[38:39]
	v_add_f64 v[92:93], v[92:93], v[98:99]
	;; [unrolled: 1-line block ×3, first 2 shown]
	v_fma_f64 v[100:101], s[18:19], v[56:57], v[54:55]
	v_fma_f64 v[54:55], v[56:57], s[18:19], -v[54:55]
	v_add_f64 v[32:33], v[32:33], v[46:47]
	v_mul_f64 v[58:59], v[58:59], s[18:19]
	v_add_f64 v[12:13], v[54:55], v[12:13]
	v_add_f64 v[54:55], v[44:45], v[46:47]
	v_add_f64 v[44:45], v[44:45], -v[46:47]
	v_add_f64 v[46:47], v[48:49], -v[52:53]
	v_fma_f64 v[102:103], s[16:17], v[60:61], v[58:59]
	v_fmac_f64_e32 v[58:59], s[20:21], v[60:61]
	v_add_f64 v[56:57], v[48:49], v[52:53]
	v_mul_f64 v[48:49], v[46:47], s[2:3]
	v_add_f64 v[14:15], v[58:59], v[14:15]
	v_fma_f64 v[52:53], s[6:7], v[54:55], v[48:49]
	v_mul_f64 v[58:59], v[56:57], s[6:7]
	v_fma_f64 v[48:49], v[54:55], s[6:7], -v[48:49]
	v_fma_f64 v[60:61], s[8:9], v[44:45], v[58:59]
	v_add_f64 v[48:49], v[48:49], v[62:63]
	v_fmac_f64_e32 v[58:59], s[2:3], v[44:45]
	v_mul_f64 v[62:63], v[46:47], s[36:37]
	v_add_f64 v[52:53], v[52:53], v[66:67]
	v_add_f64 v[58:59], v[58:59], v[64:65]
	v_fma_f64 v[64:65], s[38:39], v[54:55], v[62:63]
	v_mul_f64 v[66:67], v[56:57], s[38:39]
	v_fma_f64 v[62:63], v[54:55], s[38:39], -v[62:63]
	v_add_f64 v[60:61], v[60:61], v[70:71]
	v_fma_f64 v[70:71], s[40:41], v[44:45], v[66:67]
	v_add_f64 v[62:63], v[62:63], v[68:69]
	v_fmac_f64_e32 v[66:67], s[36:37], v[44:45]
	v_mul_f64 v[68:69], v[46:47], s[26:27]
	v_add_f64 v[64:65], v[64:65], v[74:75]
	v_add_f64 v[66:67], v[66:67], v[72:73]
	v_fma_f64 v[72:73], s[24:25], v[54:55], v[68:69]
	v_mul_f64 v[74:75], v[56:57], s[24:25]
	v_fma_f64 v[68:69], v[54:55], s[24:25], -v[68:69]
	v_add_f64 v[70:71], v[70:71], v[78:79]
	;; [unrolled: 10-line block ×3, first 2 shown]
	v_fma_f64 v[86:87], s[16:17], v[44:45], v[82:83]
	v_add_f64 v[76:77], v[76:77], v[84:85]
	v_fmac_f64_e32 v[82:83], s[20:21], v[44:45]
	v_mul_f64 v[84:85], v[46:47], s[10:11]
	v_add_f64 v[78:79], v[78:79], v[88:89]
	v_add_f64 v[82:83], v[82:83], v[90:91]
	v_fma_f64 v[88:89], s[12:13], v[54:55], v[84:85]
	v_mul_f64 v[90:91], v[56:57], s[12:13]
	v_fma_f64 v[84:85], v[54:55], s[12:13], -v[84:85]
	v_mul_f64 v[46:47], v[46:47], s[28:29]
	v_mul_f64 v[56:57], v[56:57], s[30:31]
	v_add_f64 v[86:87], v[86:87], v[96:97]
	v_add_f64 v[88:89], v[88:89], v[94:95]
	v_fma_f64 v[94:95], s[14:15], v[44:45], v[90:91]
	v_add_f64 v[84:85], v[84:85], v[92:93]
	v_fmac_f64_e32 v[90:91], s[10:11], v[44:45]
	v_fma_f64 v[92:93], s[30:31], v[54:55], v[46:47]
	v_fma_f64 v[96:97], s[34:35], v[44:45], v[56:57]
	v_fma_f64 v[46:47], v[54:55], s[30:31], -v[46:47]
	v_fmac_f64_e32 v[56:57], s[28:29], v[44:45]
	v_add_f64 v[44:45], v[36:37], v[38:39]
	v_add_f64 v[36:37], v[36:37], -v[38:39]
	v_add_f64 v[38:39], v[40:41], -v[42:43]
	v_add_f64 v[12:13], v[46:47], v[12:13]
	v_add_f64 v[46:47], v[40:41], v[42:43]
	v_mul_f64 v[40:41], v[38:39], s[22:23]
	v_fma_f64 v[42:43], s[24:25], v[44:45], v[40:41]
	v_add_f64 v[42:43], v[42:43], v[52:53]
	v_mul_f64 v[52:53], v[46:47], s[24:25]
	v_fma_f64 v[54:55], s[26:27], v[36:37], v[52:53]
	v_fma_f64 v[40:41], v[44:45], s[24:25], -v[40:41]
	v_fmac_f64_e32 v[52:53], s[22:23], v[36:37]
	v_add_f64 v[40:41], v[40:41], v[48:49]
	v_add_f64 v[48:49], v[52:53], v[58:59]
	v_mul_f64 v[52:53], v[38:39], s[34:35]
	v_add_f64 v[14:15], v[56:57], v[14:15]
	v_fma_f64 v[56:57], s[30:31], v[44:45], v[52:53]
	v_mul_f64 v[58:59], v[46:47], s[30:31]
	v_fma_f64 v[52:53], v[44:45], s[30:31], -v[52:53]
	v_add_f64 v[54:55], v[54:55], v[60:61]
	v_fma_f64 v[60:61], s[28:29], v[36:37], v[58:59]
	v_add_f64 v[52:53], v[52:53], v[62:63]
	v_fmac_f64_e32 v[58:59], s[34:35], v[36:37]
	v_mul_f64 v[62:63], v[38:39], s[20:21]
	v_add_f64 v[56:57], v[56:57], v[64:65]
	v_add_f64 v[58:59], v[58:59], v[66:67]
	v_fma_f64 v[64:65], s[18:19], v[44:45], v[62:63]
	v_mul_f64 v[66:67], v[46:47], s[18:19]
	v_fma_f64 v[62:63], v[44:45], s[18:19], -v[62:63]
	v_add_f64 v[60:61], v[60:61], v[70:71]
	v_fma_f64 v[70:71], s[16:17], v[36:37], v[66:67]
	v_add_f64 v[62:63], v[62:63], v[68:69]
	v_fmac_f64_e32 v[66:67], s[20:21], v[36:37]
	v_mul_f64 v[68:69], v[38:39], s[2:3]
	v_add_f64 v[64:65], v[64:65], v[72:73]
	v_add_f64 v[66:67], v[66:67], v[74:75]
	v_fma_f64 v[72:73], s[6:7], v[44:45], v[68:69]
	v_mul_f64 v[74:75], v[46:47], s[6:7]
	v_fma_f64 v[68:69], v[44:45], s[6:7], -v[68:69]
	v_add_f64 v[70:71], v[70:71], v[78:79]
	v_fma_f64 v[78:79], s[8:9], v[36:37], v[74:75]
	v_add_f64 v[68:69], v[68:69], v[76:77]
	v_fmac_f64_e32 v[74:75], s[2:3], v[36:37]
	v_mul_f64 v[76:77], v[38:39], s[40:41]
	v_add_f64 v[72:73], v[72:73], v[80:81]
	v_add_f64 v[74:75], v[74:75], v[82:83]
	v_fma_f64 v[80:81], s[38:39], v[44:45], v[76:77]
	v_mul_f64 v[82:83], v[46:47], s[38:39]
	v_fma_f64 v[76:77], v[44:45], s[38:39], -v[76:77]
	v_mul_f64 v[38:39], v[38:39], s[14:15]
	v_mul_f64 v[46:47], v[46:47], s[12:13]
	v_add_f64 v[78:79], v[78:79], v[86:87]
	v_add_f64 v[80:81], v[80:81], v[88:89]
	v_fma_f64 v[86:87], s[36:37], v[36:37], v[82:83]
	v_add_f64 v[76:77], v[76:77], v[84:85]
	v_fmac_f64_e32 v[82:83], s[40:41], v[36:37]
	v_fma_f64 v[84:85], s[12:13], v[44:45], v[38:39]
	v_fma_f64 v[88:89], s[10:11], v[36:37], v[46:47]
	v_fma_f64 v[38:39], v[44:45], s[12:13], -v[38:39]
	v_fmac_f64_e32 v[46:47], s[14:15], v[36:37]
	v_add_f64 v[36:37], v[24:25], v[26:27]
	v_add_f64 v[24:25], v[24:25], -v[26:27]
	v_add_f64 v[26:27], v[28:29], -v[30:31]
	v_add_f64 v[12:13], v[38:39], v[12:13]
	v_add_f64 v[38:39], v[28:29], v[30:31]
	v_mul_f64 v[28:29], v[26:27], s[28:29]
	v_fma_f64 v[30:31], s[30:31], v[36:37], v[28:29]
	v_add_f64 v[30:31], v[30:31], v[42:43]
	v_mul_f64 v[42:43], v[38:39], s[30:31]
	v_fma_f64 v[44:45], s[34:35], v[24:25], v[42:43]
	v_fma_f64 v[28:29], v[36:37], s[30:31], -v[28:29]
	v_fmac_f64_e32 v[42:43], s[28:29], v[24:25]
	v_add_f64 v[28:29], v[28:29], v[40:41]
	v_add_f64 v[40:41], v[42:43], v[48:49]
	v_mul_f64 v[42:43], v[26:27], s[8:9]
	v_add_f64 v[14:15], v[46:47], v[14:15]
	v_fma_f64 v[46:47], s[6:7], v[36:37], v[42:43]
	v_fma_f64 v[42:43], v[36:37], s[6:7], -v[42:43]
	v_mul_f64 v[48:49], v[38:39], s[6:7]
	v_add_f64 v[52:53], v[42:43], v[52:53]
	v_mul_f64 v[42:43], v[26:27], s[10:11]
	v_add_f64 v[44:45], v[44:45], v[54:55]
	v_add_f64 v[46:47], v[46:47], v[56:57]
	v_fma_f64 v[54:55], s[2:3], v[24:25], v[48:49]
	v_fmac_f64_e32 v[48:49], s[8:9], v[24:25]
	v_fma_f64 v[56:57], s[12:13], v[36:37], v[42:43]
	v_fma_f64 v[42:43], v[36:37], s[12:13], -v[42:43]
	v_add_f64 v[48:49], v[48:49], v[58:59]
	v_mul_f64 v[58:59], v[38:39], s[12:13]
	v_add_f64 v[62:63], v[42:43], v[62:63]
	v_mul_f64 v[42:43], v[26:27], s[40:41]
	v_add_f64 v[54:55], v[54:55], v[60:61]
	v_add_f64 v[56:57], v[56:57], v[64:65]
	v_fma_f64 v[60:61], s[14:15], v[24:25], v[58:59]
	v_fmac_f64_e32 v[58:59], s[10:11], v[24:25]
	v_fma_f64 v[64:65], s[38:39], v[36:37], v[42:43]
	v_fma_f64 v[42:43], v[36:37], s[38:39], -v[42:43]
	v_add_f64 v[100:101], v[100:101], v[106:107]
	v_add_f64 v[58:59], v[58:59], v[66:67]
	v_mul_f64 v[66:67], v[38:39], s[38:39]
	v_add_f64 v[68:69], v[42:43], v[68:69]
	v_mul_f64 v[42:43], v[26:27], s[20:21]
	v_add_f64 v[104:105], v[110:111], v[104:105]
	v_add_f64 v[102:103], v[102:103], v[108:109]
	;; [unrolled: 1-line block ×5, first 2 shown]
	v_fma_f64 v[70:71], s[36:37], v[24:25], v[66:67]
	v_fmac_f64_e32 v[66:67], s[40:41], v[24:25]
	v_fma_f64 v[72:73], s[18:19], v[36:37], v[42:43]
	v_fma_f64 v[42:43], v[36:37], s[18:19], -v[42:43]
	v_mul_f64 v[26:27], v[26:27], s[22:23]
	v_add_f64 v[94:95], v[94:95], v[104:105]
	v_add_f64 v[90:91], v[90:91], v[98:99]
	;; [unrolled: 1-line block ×5, first 2 shown]
	v_mul_f64 v[74:75], v[38:39], s[18:19]
	v_add_f64 v[76:77], v[42:43], v[76:77]
	v_fma_f64 v[42:43], s[24:25], v[36:37], v[26:27]
	v_mul_f64 v[38:39], v[38:39], s[24:25]
	v_add_f64 v[86:87], v[86:87], v[94:95]
	v_add_f64 v[82:83], v[82:83], v[90:91]
	;; [unrolled: 1-line block ×5, first 2 shown]
	v_fma_f64 v[78:79], s[16:17], v[24:25], v[74:75]
	v_fmac_f64_e32 v[74:75], s[20:21], v[24:25]
	v_add_f64 v[80:81], v[42:43], v[84:85]
	v_fma_f64 v[42:43], s[26:27], v[24:25], v[38:39]
	v_fma_f64 v[26:27], v[36:37], s[24:25], -v[26:27]
	v_add_f64 v[94:95], v[20:21], -v[22:23]
	v_add_f64 v[74:75], v[74:75], v[82:83]
	v_add_f64 v[82:83], v[42:43], v[88:89]
	v_add_f64 v[84:85], v[26:27], v[12:13]
	v_fmac_f64_e32 v[38:39], s[22:23], v[24:25]
	v_add_f64 v[88:89], v[16:17], v[18:19]
	v_mul_f64 v[12:13], v[94:95], s[36:37]
	v_add_f64 v[78:79], v[78:79], v[86:87]
	v_add_f64 v[86:87], v[38:39], v[14:15]
	;; [unrolled: 1-line block ×3, first 2 shown]
	v_fma_f64 v[14:15], s[38:39], v[88:89], v[12:13]
	v_add_f64 v[92:93], v[16:17], -v[18:19]
	v_add_f64 v[36:37], v[14:15], v[30:31]
	v_mul_f64 v[14:15], v[90:91], s[38:39]
	v_fma_f64 v[16:17], s[40:41], v[92:93], v[14:15]
	v_fma_f64 v[12:13], v[88:89], s[38:39], -v[12:13]
	v_add_f64 v[38:39], v[16:17], v[44:45]
	v_add_f64 v[16:17], v[12:13], v[28:29]
	v_fmac_f64_e32 v[14:15], s[36:37], v[92:93]
	v_mul_f64 v[12:13], v[94:95], s[20:21]
	v_add_f64 v[18:19], v[14:15], v[40:41]
	v_fma_f64 v[14:15], s[18:19], v[88:89], v[12:13]
	v_add_f64 v[40:41], v[14:15], v[46:47]
	v_mul_f64 v[14:15], v[90:91], s[18:19]
	v_fma_f64 v[20:21], s[16:17], v[92:93], v[14:15]
	v_fma_f64 v[12:13], v[88:89], s[18:19], -v[12:13]
	v_add_f64 v[42:43], v[20:21], v[54:55]
	v_add_f64 v[20:21], v[12:13], v[52:53]
	v_fmac_f64_e32 v[14:15], s[20:21], v[92:93]
	v_mul_f64 v[12:13], v[94:95], s[28:29]
	v_add_f64 v[22:23], v[14:15], v[48:49]
	v_fma_f64 v[14:15], s[30:31], v[88:89], v[12:13]
	;; [unrolled: 10-line block ×4, first 2 shown]
	v_add_f64 v[56:57], v[14:15], v[72:73]
	v_mul_f64 v[14:15], v[90:91], s[24:25]
	v_fma_f64 v[48:49], s[26:27], v[92:93], v[14:15]
	v_add_f64 v[58:59], v[48:49], v[78:79]
	v_mul_f64 v[48:49], v[94:95], s[8:9]
	v_fma_f64 v[60:61], s[6:7], v[88:89], v[48:49]
	v_fma_f64 v[48:49], v[88:89], s[6:7], -v[48:49]
	v_mul_f64 v[66:67], v[90:91], s[6:7]
	v_add_f64 v[64:65], v[48:49], v[84:85]
	v_mov_b32_e32 v49, 4
	v_add_f64 v[32:33], v[32:33], v[138:139]
	v_fma_f64 v[62:63], s[2:3], v[92:93], v[66:67]
	v_mul_u32_u24_e32 v48, 0xdd0, v50
	v_lshlrev_b32_sdwa v49, v49, v51 dst_sel:DWORD dst_unused:UNUSED_PAD src0_sel:DWORD src1_sel:BYTE_0
	v_add_f64 v[32:33], v[32:33], v[140:141]
	v_fma_f64 v[12:13], v[88:89], s[24:25], -v[12:13]
	v_fmac_f64_e32 v[14:15], s[22:23], v[92:93]
	v_add_f64 v[60:61], v[60:61], v[80:81]
	v_add_f64 v[62:63], v[62:63], v[82:83]
	v_fmac_f64_e32 v[66:67], s[8:9], v[92:93]
	v_add3_u32 v48, 0, v48, v49
	v_add_f64 v[12:13], v[12:13], v[76:77]
	v_add_f64 v[14:15], v[14:15], v[74:75]
	;; [unrolled: 1-line block ×3, first 2 shown]
	ds_write_b128 v48, v[32:35]
	ds_write_b128 v48, v[36:39] offset:272
	ds_write_b128 v48, v[40:43] offset:544
	;; [unrolled: 1-line block ×12, first 2 shown]
	s_waitcnt lgkmcnt(0)
	s_barrier
	ds_read_b128 v[32:35], v178
	ds_read_b128 v[60:63], v178 offset:3536
	ds_read_b128 v[56:59], v178 offset:7072
	;; [unrolled: 1-line block ×7, first 2 shown]
	s_movk_i32 s2, 0x55
	v_cmp_gt_u32_e32 vcc, s2, v118
	s_and_saveexec_b64 s[2:3], vcc
	s_cbranch_execz .LBB0_15
; %bb.14:
	ds_read_b128 v[12:15], v178 offset:2176
	ds_read_b128 v[28:31], v178 offset:5712
	;; [unrolled: 1-line block ×8, first 2 shown]
.LBB0_15:
	s_or_b64 exec, exec, s[2:3]
	v_mul_u32_u24_e32 v64, 7, v118
	v_lshlrev_b32_e32 v92, 4, v64
	global_load_dwordx4 v[64:67], v92, s[4:5] offset:3264
	global_load_dwordx4 v[68:71], v92, s[4:5] offset:3280
	;; [unrolled: 1-line block ×7, first 2 shown]
	s_mov_b32 s2, 0x667f3bcd
	s_mov_b32 s3, 0xbfe6a09e
	s_mov_b32 s7, 0x3fe6a09e
	s_mov_b32 s6, s2
	s_waitcnt lgkmcnt(0)
	s_barrier
	s_waitcnt vmcnt(6)
	v_mul_f64 v[92:93], v[62:63], v[66:67]
	v_mul_f64 v[66:67], v[60:61], v[66:67]
	s_waitcnt vmcnt(5)
	v_mul_f64 v[94:95], v[58:59], v[70:71]
	v_mul_f64 v[70:71], v[56:57], v[70:71]
	;; [unrolled: 3-line block ×7, first 2 shown]
	v_fmac_f64_e32 v[92:93], v[60:61], v[64:65]
	v_fma_f64 v[60:61], v[62:63], v[64:65], -v[66:67]
	v_fmac_f64_e32 v[94:95], v[56:57], v[68:69]
	v_fma_f64 v[56:57], v[58:59], v[68:69], -v[70:71]
	;; [unrolled: 2-line block ×7, first 2 shown]
	v_add_f64 v[38:39], v[32:33], -v[98:99]
	v_add_f64 v[42:43], v[34:35], -v[48:49]
	;; [unrolled: 1-line block ×8, first 2 shown]
	v_fma_f64 v[54:55], v[32:33], 2.0, -v[38:39]
	v_fma_f64 v[58:59], v[34:35], 2.0, -v[42:43]
	;; [unrolled: 1-line block ×8, first 2 shown]
	v_add_f64 v[66:67], v[42:43], -v[46:47]
	v_add_f64 v[64:65], v[38:39], v[40:41]
	v_add_f64 v[68:69], v[48:49], v[36:37]
	v_add_f64 v[46:47], v[44:45], -v[50:51]
	v_add_f64 v[50:51], v[54:55], -v[32:33]
	v_add_f64 v[70:71], v[58:59], -v[34:35]
	v_fma_f64 v[74:75], v[42:43], 2.0, -v[66:67]
	v_add_f64 v[42:43], v[56:57], -v[62:63]
	v_add_f64 v[40:41], v[60:61], -v[52:53]
	v_fma_f64 v[72:73], v[38:39], 2.0, -v[64:65]
	v_fma_f64 v[48:49], v[48:49], 2.0, -v[68:69]
	;; [unrolled: 1-line block ×3, first 2 shown]
	v_fma_f64 v[32:33], s[6:7], v[68:69], v[64:65]
	v_fma_f64 v[54:55], v[54:55], 2.0, -v[50:51]
	v_fma_f64 v[58:59], v[58:59], 2.0, -v[70:71]
	;; [unrolled: 1-line block ×4, first 2 shown]
	v_fma_f64 v[34:35], s[6:7], v[46:47], v[66:67]
	v_fma_f64 v[36:37], s[2:3], v[48:49], v[72:73]
	;; [unrolled: 1-line block ×3, first 2 shown]
	v_fmac_f64_e32 v[32:33], s[6:7], v[46:47]
	v_add_f64 v[44:45], v[54:55], -v[44:45]
	v_add_f64 v[46:47], v[58:59], -v[56:57]
	v_add_f64 v[40:41], v[50:51], v[40:41]
	v_add_f64 v[42:43], v[70:71], -v[42:43]
	v_fmac_f64_e32 v[36:37], s[6:7], v[52:53]
	v_fmac_f64_e32 v[38:39], s[2:3], v[48:49]
	v_fma_f64 v[52:53], v[54:55], 2.0, -v[44:45]
	v_fma_f64 v[54:55], v[58:59], 2.0, -v[46:47]
	v_fmac_f64_e32 v[34:35], s[2:3], v[68:69]
	v_fma_f64 v[48:49], v[50:51], 2.0, -v[40:41]
	v_fma_f64 v[50:51], v[70:71], 2.0, -v[42:43]
	;; [unrolled: 1-line block ×6, first 2 shown]
	ds_write_b128 v178, v[52:55]
	ds_write_b128 v178, v[56:59] offset:3536
	ds_write_b128 v178, v[48:51] offset:7072
	;; [unrolled: 1-line block ×7, first 2 shown]
	s_and_saveexec_b64 s[8:9], vcc
	s_cbranch_execz .LBB0_17
; %bb.16:
	v_add_u32_e32 v32, 0x88, v118
	v_add_u32_e32 v33, 0xffffffab, v118
	v_cndmask_b32_e32 v32, v33, v32, vcc
	v_mul_i32_i24_e32 v32, 7, v32
	v_mov_b32_e32 v33, 0
	v_lshl_add_u64 v[60:61], v[32:33], 4, s[4:5]
	global_load_dwordx4 v[32:35], v[60:61], off offset:3312
	global_load_dwordx4 v[36:39], v[60:61], off offset:3280
	global_load_dwordx4 v[40:43], v[60:61], off offset:3344
	global_load_dwordx4 v[44:47], v[60:61], off offset:3264
	global_load_dwordx4 v[48:51], v[60:61], off offset:3328
	global_load_dwordx4 v[52:55], v[60:61], off offset:3296
	global_load_dwordx4 v[56:59], v[60:61], off offset:3360
	s_waitcnt vmcnt(6)
	v_mul_f64 v[60:61], v[16:17], v[34:35]
	s_waitcnt vmcnt(5)
	v_mul_f64 v[62:63], v[26:27], v[38:39]
	;; [unrolled: 2-line block ×7, first 2 shown]
	v_mul_f64 v[46:47], v[30:31], v[46:47]
	v_mul_f64 v[50:51], v[10:11], v[50:51]
	;; [unrolled: 1-line block ×7, first 2 shown]
	v_fma_f64 v[18:19], v[18:19], v[32:33], -v[60:61]
	v_fmac_f64_e32 v[62:63], v[24:25], v[36:37]
	v_fmac_f64_e32 v[64:65], v[4:5], v[40:41]
	v_fma_f64 v[4:5], v[30:31], v[44:45], -v[66:67]
	v_fma_f64 v[10:11], v[10:11], v[48:49], -v[68:69]
	v_fmac_f64_e32 v[70:71], v[20:21], v[52:53]
	v_fmac_f64_e32 v[72:73], v[0:1], v[56:57]
	;; [unrolled: 1-line block ×4, first 2 shown]
	v_fma_f64 v[0:1], v[22:23], v[52:53], -v[54:55]
	v_fma_f64 v[2:3], v[2:3], v[56:57], -v[58:59]
	;; [unrolled: 1-line block ×4, first 2 shown]
	v_fmac_f64_e32 v[34:35], v[16:17], v[32:33]
	v_add_f64 v[16:17], v[14:15], -v[18:19]
	v_add_f64 v[18:19], v[62:63], -v[64:65]
	;; [unrolled: 1-line block ×10, first 2 shown]
	v_add_f64 v[30:31], v[22:23], v[2:3]
	v_add_f64 v[32:33], v[24:25], v[6:7]
	v_fma_f64 v[14:15], v[14:15], 2.0, -v[16:17]
	v_fma_f64 v[6:7], v[8:9], 2.0, -v[6:7]
	;; [unrolled: 1-line block ×8, first 2 shown]
	v_fma_f64 v[2:3], s[6:7], v[28:29], v[26:27]
	v_fma_f64 v[0:1], s[6:7], v[30:31], v[32:33]
	v_add_f64 v[36:37], v[14:15], -v[6:7]
	v_add_f64 v[38:39], v[34:35], -v[8:9]
	;; [unrolled: 1-line block ×4, first 2 shown]
	v_fma_f64 v[42:43], v[16:17], 2.0, -v[26:27]
	v_fma_f64 v[44:45], v[10:11], 2.0, -v[28:29]
	;; [unrolled: 1-line block ×4, first 2 shown]
	v_fmac_f64_e32 v[2:3], s[2:3], v[30:31]
	v_fmac_f64_e32 v[0:1], s[6:7], v[28:29]
	v_fma_f64 v[10:11], s[2:3], v[44:45], v[42:43]
	v_fma_f64 v[28:29], v[14:15], 2.0, -v[36:37]
	v_fma_f64 v[20:21], v[20:21], 2.0, -v[18:19]
	;; [unrolled: 1-line block ×4, first 2 shown]
	v_fma_f64 v[8:9], s[2:3], v[22:23], v[24:25]
	v_fmac_f64_e32 v[10:11], s[2:3], v[22:23]
	v_add_f64 v[22:23], v[28:29], -v[20:21]
	v_add_f64 v[20:21], v[46:47], -v[30:31]
	;; [unrolled: 1-line block ×3, first 2 shown]
	v_add_f64 v[4:5], v[40:41], v[18:19]
	v_fmac_f64_e32 v[8:9], s[6:7], v[44:45]
	v_fma_f64 v[30:31], v[28:29], 2.0, -v[22:23]
	v_fma_f64 v[28:29], v[46:47], 2.0, -v[20:21]
	;; [unrolled: 1-line block ×8, first 2 shown]
	ds_write_b128 v178, v[28:31] offset:2176
	ds_write_b128 v178, v[24:27] offset:5712
	;; [unrolled: 1-line block ×8, first 2 shown]
.LBB0_17:
	s_or_b64 exec, exec, s[8:9]
	s_waitcnt lgkmcnt(0)
	s_barrier
	ds_read_b128 v[4:7], v178
	s_add_u32 s2, s4, 0x6d70
	v_lshlrev_b32_e32 v0, 4, v118
	s_addc_u32 s3, s5, 0
	v_sub_u32_e32 v12, 0, v0
	v_cmp_ne_u32_e32 vcc, 0, v118
                                        ; implicit-def: $vgpr2_vgpr3
                                        ; implicit-def: $vgpr10_vgpr11
                                        ; implicit-def: $vgpr8_vgpr9
	s_and_saveexec_b64 s[4:5], vcc
	s_xor_b64 s[4:5], exec, s[4:5]
	s_cbranch_execz .LBB0_19
; %bb.18:
	v_mov_b32_e32 v119, 0
	v_lshl_add_u64 v[0:1], v[118:119], 4, s[2:3]
	global_load_dwordx4 v[0:3], v[0:1], off
	ds_read_b128 v[8:11], v12 offset:28288
	s_waitcnt lgkmcnt(0)
	v_add_f64 v[14:15], v[4:5], v[8:9]
	v_add_f64 v[4:5], v[4:5], -v[8:9]
	v_add_f64 v[16:17], v[6:7], v[10:11]
	v_add_f64 v[6:7], v[6:7], -v[10:11]
	v_mul_f64 v[4:5], v[4:5], 0.5
	v_mul_f64 v[8:9], v[16:17], 0.5
	;; [unrolled: 1-line block ×3, first 2 shown]
	s_waitcnt vmcnt(0)
	v_mul_f64 v[16:17], v[4:5], v[2:3]
	v_fma_f64 v[10:11], v[8:9], v[2:3], v[6:7]
	v_fma_f64 v[2:3], v[8:9], v[2:3], -v[6:7]
	v_fma_f64 v[6:7], 0.5, v[14:15], v[16:17]
	v_fma_f64 v[14:15], v[14:15], 0.5, -v[16:17]
	v_fmac_f64_e32 v[6:7], v[8:9], v[0:1]
	v_fma_f64 v[10:11], -v[0:1], v[4:5], v[10:11]
	v_fma_f64 v[2:3], -v[0:1], v[4:5], v[2:3]
	;; [unrolled: 1-line block ×3, first 2 shown]
	ds_write_b64 v178, v[6:7]
	v_mov_b64_e32 v[8:9], v[118:119]
                                        ; implicit-def: $vgpr4_vgpr5
.LBB0_19:
	s_andn2_saveexec_b64 s[4:5], s[4:5]
	s_cbranch_execz .LBB0_21
; %bb.20:
	v_mov_b32_e32 v13, 0
	ds_read_b64 v[2:3], v13 offset:14152
	s_waitcnt lgkmcnt(1)
	v_add_f64 v[10:11], v[4:5], v[6:7]
	ds_write_b64 v178, v[10:11]
	v_mov_b64_e32 v[10:11], 0
	v_add_f64 v[0:1], v[4:5], -v[6:7]
	s_waitcnt lgkmcnt(1)
	v_xor_b32_e32 v3, 0x80000000, v3
	v_mov_b64_e32 v[8:9], 0
	ds_write_b64 v13, v[2:3] offset:14152
	v_mov_b64_e32 v[2:3], v[10:11]
.LBB0_21:
	s_or_b64 exec, exec, s[4:5]
	s_waitcnt lgkmcnt(0)
	v_lshl_add_u64 v[4:5], v[8:9], 4, s[2:3]
	global_load_dwordx4 v[14:17], v[4:5], off offset:2176
	s_movk_i32 s2, 0x1000
	v_add_co_u32_e32 v6, vcc, s2, v4
	s_movk_i32 s2, 0x2000
	s_nop 0
	v_addc_co_u32_e32 v7, vcc, 0, v5, vcc
	global_load_dwordx4 v[18:21], v[6:7], off offset:256
	global_load_dwordx4 v[22:25], v[6:7], off offset:2432
	v_add_co_u32_e32 v6, vcc, s2, v4
	ds_write_b64 v178, v[10:11] offset:8
	ds_write_b128 v12, v[0:3] offset:28288
	v_addc_co_u32_e32 v7, vcc, 0, v5, vcc
	ds_read_b128 v[0:3], v178 offset:2176
	ds_read_b128 v[26:29], v12 offset:26112
	global_load_dwordx4 v[30:33], v[6:7], off offset:512
	s_movk_i32 s2, 0x44
	v_cmp_gt_u32_e32 vcc, s2, v118
	s_waitcnt lgkmcnt(0)
	v_add_f64 v[10:11], v[0:1], v[26:27]
	v_add_f64 v[0:1], v[0:1], -v[26:27]
	v_add_f64 v[34:35], v[2:3], v[28:29]
	v_add_f64 v[2:3], v[2:3], -v[28:29]
	v_mul_f64 v[28:29], v[0:1], 0.5
	v_mul_f64 v[26:27], v[34:35], 0.5
	v_mul_f64 v[0:1], v[2:3], 0.5
	s_waitcnt vmcnt(3)
	v_mul_f64 v[34:35], v[28:29], v[16:17]
	v_fma_f64 v[2:3], v[26:27], v[16:17], v[0:1]
	v_fma_f64 v[16:17], v[26:27], v[16:17], -v[0:1]
	v_fma_f64 v[0:1], 0.5, v[10:11], v[34:35]
	v_fma_f64 v[2:3], -v[14:15], v[28:29], v[2:3]
	v_fma_f64 v[10:11], v[10:11], 0.5, -v[34:35]
	v_fmac_f64_e32 v[0:1], v[26:27], v[14:15]
	v_fma_f64 v[16:17], -v[14:15], v[28:29], v[16:17]
	v_fma_f64 v[14:15], -v[26:27], v[14:15], v[10:11]
	ds_write_b128 v178, v[0:3] offset:2176
	ds_write_b128 v12, v[14:17] offset:26112
	ds_read_b128 v[0:3], v178 offset:4352
	ds_read_b128 v[14:17], v12 offset:23936
	global_load_dwordx4 v[26:29], v[6:7], off offset:2688
	s_waitcnt lgkmcnt(0)
	v_add_f64 v[6:7], v[0:1], v[14:15]
	v_add_f64 v[0:1], v[0:1], -v[14:15]
	v_add_f64 v[10:11], v[2:3], v[16:17]
	v_add_f64 v[2:3], v[2:3], -v[16:17]
	v_mul_f64 v[14:15], v[0:1], 0.5
	v_mul_f64 v[10:11], v[10:11], 0.5
	v_mul_f64 v[0:1], v[2:3], 0.5
	s_waitcnt vmcnt(3)
	v_mul_f64 v[16:17], v[14:15], v[20:21]
	v_fma_f64 v[2:3], v[10:11], v[20:21], v[0:1]
	v_fma_f64 v[20:21], v[10:11], v[20:21], -v[0:1]
	v_fma_f64 v[0:1], 0.5, v[6:7], v[16:17]
	v_fma_f64 v[2:3], -v[18:19], v[14:15], v[2:3]
	v_fma_f64 v[6:7], v[6:7], 0.5, -v[16:17]
	v_fmac_f64_e32 v[0:1], v[10:11], v[18:19]
	v_fma_f64 v[16:17], -v[18:19], v[14:15], v[20:21]
	v_fma_f64 v[14:15], -v[10:11], v[18:19], v[6:7]
	ds_write_b128 v178, v[0:3] offset:4352
	ds_write_b128 v12, v[14:17] offset:23936
	ds_read_b128 v[0:3], v178 offset:6528
	ds_read_b128 v[14:17], v12 offset:21760
	s_waitcnt lgkmcnt(0)
	v_add_f64 v[6:7], v[0:1], v[14:15]
	v_add_f64 v[0:1], v[0:1], -v[14:15]
	v_add_f64 v[10:11], v[2:3], v[16:17]
	v_add_f64 v[2:3], v[2:3], -v[16:17]
	v_mul_f64 v[14:15], v[0:1], 0.5
	v_mul_f64 v[10:11], v[10:11], 0.5
	v_mul_f64 v[0:1], v[2:3], 0.5
	s_waitcnt vmcnt(2)
	v_mul_f64 v[16:17], v[14:15], v[24:25]
	v_fma_f64 v[2:3], v[10:11], v[24:25], v[0:1]
	v_fma_f64 v[18:19], v[10:11], v[24:25], -v[0:1]
	v_fma_f64 v[0:1], 0.5, v[6:7], v[16:17]
	v_fma_f64 v[2:3], -v[22:23], v[14:15], v[2:3]
	v_fma_f64 v[6:7], v[6:7], 0.5, -v[16:17]
	v_fmac_f64_e32 v[0:1], v[10:11], v[22:23]
	v_fma_f64 v[16:17], -v[22:23], v[14:15], v[18:19]
	v_fma_f64 v[14:15], -v[10:11], v[22:23], v[6:7]
	ds_write_b128 v178, v[0:3] offset:6528
	ds_write_b128 v12, v[14:17] offset:21760
	ds_read_b128 v[0:3], v178 offset:8704
	ds_read_b128 v[14:17], v12 offset:19584
	;; [unrolled: 22-line block ×3, first 2 shown]
	s_waitcnt lgkmcnt(0)
	v_add_f64 v[6:7], v[0:1], v[14:15]
	v_add_f64 v[0:1], v[0:1], -v[14:15]
	v_add_f64 v[10:11], v[2:3], v[16:17]
	v_add_f64 v[2:3], v[2:3], -v[16:17]
	v_mul_f64 v[14:15], v[0:1], 0.5
	v_mul_f64 v[10:11], v[10:11], 0.5
	;; [unrolled: 1-line block ×3, first 2 shown]
	s_waitcnt vmcnt(0)
	v_mul_f64 v[16:17], v[14:15], v[28:29]
	v_fma_f64 v[2:3], v[10:11], v[28:29], v[0:1]
	v_fma_f64 v[18:19], v[10:11], v[28:29], -v[0:1]
	v_fma_f64 v[0:1], 0.5, v[6:7], v[16:17]
	v_fma_f64 v[2:3], -v[26:27], v[14:15], v[2:3]
	v_fma_f64 v[6:7], v[6:7], 0.5, -v[16:17]
	v_fmac_f64_e32 v[0:1], v[10:11], v[26:27]
	v_fma_f64 v[16:17], -v[26:27], v[14:15], v[18:19]
	v_fma_f64 v[14:15], -v[10:11], v[26:27], v[6:7]
	ds_write_b128 v178, v[0:3] offset:10880
	ds_write_b128 v12, v[14:17] offset:17408
	s_and_saveexec_b64 s[2:3], vcc
	s_cbranch_execz .LBB0_23
; %bb.22:
	s_movk_i32 s4, 0x3000
	v_add_co_u32_e32 v0, vcc, s4, v4
	s_nop 1
	v_addc_co_u32_e32 v1, vcc, 0, v5, vcc
	global_load_dwordx4 v[0:3], v[0:1], off offset:768
	ds_read_b128 v[4:7], v178 offset:13056
	ds_read_b128 v[14:17], v12 offset:15232
	s_waitcnt lgkmcnt(0)
	v_add_f64 v[10:11], v[4:5], v[14:15]
	v_add_f64 v[4:5], v[4:5], -v[14:15]
	v_add_f64 v[18:19], v[6:7], v[16:17]
	v_add_f64 v[6:7], v[6:7], -v[16:17]
	v_mul_f64 v[16:17], v[4:5], 0.5
	v_mul_f64 v[14:15], v[18:19], 0.5
	;; [unrolled: 1-line block ×3, first 2 shown]
	s_waitcnt vmcnt(0)
	v_mul_f64 v[6:7], v[16:17], v[2:3]
	v_fma_f64 v[18:19], v[14:15], v[2:3], v[4:5]
	v_fma_f64 v[20:21], v[14:15], v[2:3], -v[4:5]
	v_fma_f64 v[2:3], 0.5, v[10:11], v[6:7]
	v_fma_f64 v[4:5], -v[0:1], v[16:17], v[18:19]
	v_fma_f64 v[6:7], v[10:11], 0.5, -v[6:7]
	v_fmac_f64_e32 v[2:3], v[14:15], v[0:1]
	v_fma_f64 v[16:17], -v[0:1], v[16:17], v[20:21]
	v_fma_f64 v[14:15], -v[14:15], v[0:1], v[6:7]
	ds_write_b128 v178, v[2:5] offset:13056
	ds_write_b128 v12, v[14:17] offset:15232
.LBB0_23:
	s_or_b64 exec, exec, s[2:3]
	s_waitcnt lgkmcnt(0)
	s_barrier
	s_and_saveexec_b64 s[2:3], s[0:1]
	s_cbranch_execz .LBB0_26
; %bb.24:
	ds_read_b128 v[0:3], v178
	ds_read_b128 v[4:7], v178 offset:2176
	v_lshl_add_u64 v[8:9], v[8:9], 4, v[180:181]
	v_add_co_u32_e32 v10, vcc, 0x1000, v8
	s_movk_i32 s0, 0x87
	s_waitcnt lgkmcnt(1)
	global_store_dwordx4 v[8:9], v[0:3], off
	s_waitcnt lgkmcnt(0)
	global_store_dwordx4 v[8:9], v[4:7], off offset:2176
	ds_read_b128 v[0:3], v178 offset:4352
	ds_read_b128 v[4:7], v178 offset:6528
	v_addc_co_u32_e32 v11, vcc, 0, v9, vcc
	s_waitcnt lgkmcnt(1)
	global_store_dwordx4 v[10:11], v[0:3], off offset:256
	s_waitcnt lgkmcnt(0)
	global_store_dwordx4 v[10:11], v[4:7], off offset:2432
	ds_read_b128 v[0:3], v178 offset:8704
	ds_read_b128 v[4:7], v178 offset:10880
	v_add_co_u32_e32 v10, vcc, 0x2000, v8
	s_nop 1
	v_addc_co_u32_e32 v11, vcc, 0, v9, vcc
	s_waitcnt lgkmcnt(1)
	global_store_dwordx4 v[10:11], v[0:3], off offset:512
	s_waitcnt lgkmcnt(0)
	global_store_dwordx4 v[10:11], v[4:7], off offset:2688
	ds_read_b128 v[0:3], v178 offset:13056
	ds_read_b128 v[4:7], v178 offset:15232
	v_add_co_u32_e32 v10, vcc, 0x3000, v8
	s_nop 1
	;; [unrolled: 9-line block ×4, first 2 shown]
	v_addc_co_u32_e32 v11, vcc, 0, v9, vcc
	s_waitcnt lgkmcnt(1)
	global_store_dwordx4 v[10:11], v[0:3], off offset:1280
	s_waitcnt lgkmcnt(0)
	global_store_dwordx4 v[10:11], v[4:7], off offset:3456
	ds_read_b128 v[0:3], v178 offset:26112
	s_nop 0
	v_add_co_u32_e32 v4, vcc, 0x6000, v8
	s_nop 1
	v_addc_co_u32_e32 v5, vcc, 0, v9, vcc
	v_cmp_eq_u32_e32 vcc, s0, v118
	s_waitcnt lgkmcnt(0)
	global_store_dwordx4 v[4:5], v[0:3], off offset:1536
	s_and_b64 exec, exec, vcc
	s_cbranch_execz .LBB0_26
; %bb.25:
	v_mov_b32_e32 v0, 0
	ds_read_b128 v[0:3], v0 offset:28288
	v_add_co_u32_e32 v4, vcc, 0x6000, v180
	s_nop 1
	v_addc_co_u32_e32 v5, vcc, 0, v181, vcc
	s_waitcnt lgkmcnt(0)
	global_store_dwordx4 v[4:5], v[0:3], off offset:3712
.LBB0_26:
	s_endpgm
	.section	.rodata,"a",@progbits
	.p2align	6, 0x0
	.amdhsa_kernel fft_rtc_back_len1768_factors_17_13_8_wgs_136_tpt_136_halfLds_dp_ip_CI_unitstride_sbrr_R2C_dirReg
		.amdhsa_group_segment_fixed_size 0
		.amdhsa_private_segment_fixed_size 0
		.amdhsa_kernarg_size 88
		.amdhsa_user_sgpr_count 2
		.amdhsa_user_sgpr_dispatch_ptr 0
		.amdhsa_user_sgpr_queue_ptr 0
		.amdhsa_user_sgpr_kernarg_segment_ptr 1
		.amdhsa_user_sgpr_dispatch_id 0
		.amdhsa_user_sgpr_kernarg_preload_length 0
		.amdhsa_user_sgpr_kernarg_preload_offset 0
		.amdhsa_user_sgpr_private_segment_size 0
		.amdhsa_uses_dynamic_stack 0
		.amdhsa_enable_private_segment 0
		.amdhsa_system_sgpr_workgroup_id_x 1
		.amdhsa_system_sgpr_workgroup_id_y 0
		.amdhsa_system_sgpr_workgroup_id_z 0
		.amdhsa_system_sgpr_workgroup_info 0
		.amdhsa_system_vgpr_workitem_id 0
		.amdhsa_next_free_vgpr 308
		.amdhsa_next_free_sgpr 56
		.amdhsa_accum_offset 256
		.amdhsa_reserve_vcc 1
		.amdhsa_float_round_mode_32 0
		.amdhsa_float_round_mode_16_64 0
		.amdhsa_float_denorm_mode_32 3
		.amdhsa_float_denorm_mode_16_64 3
		.amdhsa_dx10_clamp 1
		.amdhsa_ieee_mode 1
		.amdhsa_fp16_overflow 0
		.amdhsa_tg_split 0
		.amdhsa_exception_fp_ieee_invalid_op 0
		.amdhsa_exception_fp_denorm_src 0
		.amdhsa_exception_fp_ieee_div_zero 0
		.amdhsa_exception_fp_ieee_overflow 0
		.amdhsa_exception_fp_ieee_underflow 0
		.amdhsa_exception_fp_ieee_inexact 0
		.amdhsa_exception_int_div_zero 0
	.end_amdhsa_kernel
	.text
.Lfunc_end0:
	.size	fft_rtc_back_len1768_factors_17_13_8_wgs_136_tpt_136_halfLds_dp_ip_CI_unitstride_sbrr_R2C_dirReg, .Lfunc_end0-fft_rtc_back_len1768_factors_17_13_8_wgs_136_tpt_136_halfLds_dp_ip_CI_unitstride_sbrr_R2C_dirReg
                                        ; -- End function
	.section	.AMDGPU.csdata,"",@progbits
; Kernel info:
; codeLenInByte = 16616
; NumSgprs: 62
; NumVgprs: 256
; NumAgprs: 52
; TotalNumVgprs: 308
; ScratchSize: 0
; MemoryBound: 0
; FloatMode: 240
; IeeeMode: 1
; LDSByteSize: 0 bytes/workgroup (compile time only)
; SGPRBlocks: 7
; VGPRBlocks: 38
; NumSGPRsForWavesPerEU: 62
; NumVGPRsForWavesPerEU: 308
; AccumOffset: 256
; Occupancy: 1
; WaveLimiterHint : 1
; COMPUTE_PGM_RSRC2:SCRATCH_EN: 0
; COMPUTE_PGM_RSRC2:USER_SGPR: 2
; COMPUTE_PGM_RSRC2:TRAP_HANDLER: 0
; COMPUTE_PGM_RSRC2:TGID_X_EN: 1
; COMPUTE_PGM_RSRC2:TGID_Y_EN: 0
; COMPUTE_PGM_RSRC2:TGID_Z_EN: 0
; COMPUTE_PGM_RSRC2:TIDIG_COMP_CNT: 0
; COMPUTE_PGM_RSRC3_GFX90A:ACCUM_OFFSET: 63
; COMPUTE_PGM_RSRC3_GFX90A:TG_SPLIT: 0
	.text
	.p2alignl 6, 3212836864
	.fill 256, 4, 3212836864
	.type	__hip_cuid_22a92965501d37db,@object ; @__hip_cuid_22a92965501d37db
	.section	.bss,"aw",@nobits
	.globl	__hip_cuid_22a92965501d37db
__hip_cuid_22a92965501d37db:
	.byte	0                               ; 0x0
	.size	__hip_cuid_22a92965501d37db, 1

	.ident	"AMD clang version 19.0.0git (https://github.com/RadeonOpenCompute/llvm-project roc-6.4.0 25133 c7fe45cf4b819c5991fe208aaa96edf142730f1d)"
	.section	".note.GNU-stack","",@progbits
	.addrsig
	.addrsig_sym __hip_cuid_22a92965501d37db
	.amdgpu_metadata
---
amdhsa.kernels:
  - .agpr_count:     52
    .args:
      - .actual_access:  read_only
        .address_space:  global
        .offset:         0
        .size:           8
        .value_kind:     global_buffer
      - .offset:         8
        .size:           8
        .value_kind:     by_value
      - .actual_access:  read_only
        .address_space:  global
        .offset:         16
        .size:           8
        .value_kind:     global_buffer
      - .actual_access:  read_only
        .address_space:  global
        .offset:         24
        .size:           8
        .value_kind:     global_buffer
      - .offset:         32
        .size:           8
        .value_kind:     by_value
      - .actual_access:  read_only
        .address_space:  global
        .offset:         40
        .size:           8
        .value_kind:     global_buffer
      - .actual_access:  read_only
        .address_space:  global
        .offset:         48
        .size:           8
        .value_kind:     global_buffer
      - .offset:         56
        .size:           4
        .value_kind:     by_value
      - .actual_access:  read_only
        .address_space:  global
        .offset:         64
        .size:           8
        .value_kind:     global_buffer
      - .actual_access:  read_only
        .address_space:  global
        .offset:         72
        .size:           8
        .value_kind:     global_buffer
      - .address_space:  global
        .offset:         80
        .size:           8
        .value_kind:     global_buffer
    .group_segment_fixed_size: 0
    .kernarg_segment_align: 8
    .kernarg_segment_size: 88
    .language:       OpenCL C
    .language_version:
      - 2
      - 0
    .max_flat_workgroup_size: 136
    .name:           fft_rtc_back_len1768_factors_17_13_8_wgs_136_tpt_136_halfLds_dp_ip_CI_unitstride_sbrr_R2C_dirReg
    .private_segment_fixed_size: 0
    .sgpr_count:     62
    .sgpr_spill_count: 0
    .symbol:         fft_rtc_back_len1768_factors_17_13_8_wgs_136_tpt_136_halfLds_dp_ip_CI_unitstride_sbrr_R2C_dirReg.kd
    .uniform_work_group_size: 1
    .uses_dynamic_stack: false
    .vgpr_count:     308
    .vgpr_spill_count: 0
    .wavefront_size: 64
amdhsa.target:   amdgcn-amd-amdhsa--gfx950
amdhsa.version:
  - 1
  - 2
...

	.end_amdgpu_metadata
